;; amdgpu-corpus repo=ROCm/rocFFT kind=compiled arch=gfx1030 opt=O3
	.text
	.amdgcn_target "amdgcn-amd-amdhsa--gfx1030"
	.amdhsa_code_object_version 6
	.protected	fft_rtc_fwd_len1496_factors_17_8_11_wgs_187_tpt_187_halfLds_dp_op_CI_CI_unitstride_sbrr_R2C_dirReg ; -- Begin function fft_rtc_fwd_len1496_factors_17_8_11_wgs_187_tpt_187_halfLds_dp_op_CI_CI_unitstride_sbrr_R2C_dirReg
	.globl	fft_rtc_fwd_len1496_factors_17_8_11_wgs_187_tpt_187_halfLds_dp_op_CI_CI_unitstride_sbrr_R2C_dirReg
	.p2align	8
	.type	fft_rtc_fwd_len1496_factors_17_8_11_wgs_187_tpt_187_halfLds_dp_op_CI_CI_unitstride_sbrr_R2C_dirReg,@function
fft_rtc_fwd_len1496_factors_17_8_11_wgs_187_tpt_187_halfLds_dp_op_CI_CI_unitstride_sbrr_R2C_dirReg: ; @fft_rtc_fwd_len1496_factors_17_8_11_wgs_187_tpt_187_halfLds_dp_op_CI_CI_unitstride_sbrr_R2C_dirReg
; %bb.0:
	s_clause 0x2
	s_load_dwordx4 s[12:15], s[4:5], 0x0
	s_load_dwordx4 s[8:11], s[4:5], 0x58
	;; [unrolled: 1-line block ×3, first 2 shown]
	v_mul_u32_u24_e32 v1, 0x15f, v0
	v_mov_b32_e32 v3, 0
	v_add_nc_u32_sdwa v5, s6, v1 dst_sel:DWORD dst_unused:UNUSED_PAD src0_sel:DWORD src1_sel:WORD_1
	v_mov_b32_e32 v1, 0
	v_mov_b32_e32 v6, v3
	v_mov_b32_e32 v2, 0
	s_waitcnt lgkmcnt(0)
	v_cmp_lt_u64_e64 s0, s[14:15], 2
	s_and_b32 vcc_lo, exec_lo, s0
	s_cbranch_vccnz .LBB0_8
; %bb.1:
	s_load_dwordx2 s[0:1], s[4:5], 0x10
	v_mov_b32_e32 v1, 0
	v_mov_b32_e32 v2, 0
	s_add_u32 s2, s18, 8
	s_addc_u32 s3, s19, 0
	s_add_u32 s6, s16, 8
	s_addc_u32 s7, s17, 0
	v_mov_b32_e32 v93, v2
	v_mov_b32_e32 v92, v1
	s_mov_b64 s[22:23], 1
	s_waitcnt lgkmcnt(0)
	s_add_u32 s20, s0, 8
	s_addc_u32 s21, s1, 0
.LBB0_2:                                ; =>This Inner Loop Header: Depth=1
	s_load_dwordx2 s[24:25], s[20:21], 0x0
                                        ; implicit-def: $vgpr94_vgpr95
	s_mov_b32 s0, exec_lo
	s_waitcnt lgkmcnt(0)
	v_or_b32_e32 v4, s25, v6
	v_cmpx_ne_u64_e32 0, v[3:4]
	s_xor_b32 s1, exec_lo, s0
	s_cbranch_execz .LBB0_4
; %bb.3:                                ;   in Loop: Header=BB0_2 Depth=1
	v_cvt_f32_u32_e32 v4, s24
	v_cvt_f32_u32_e32 v7, s25
	s_sub_u32 s0, 0, s24
	s_subb_u32 s26, 0, s25
	v_fmac_f32_e32 v4, 0x4f800000, v7
	v_rcp_f32_e32 v4, v4
	v_mul_f32_e32 v4, 0x5f7ffffc, v4
	v_mul_f32_e32 v7, 0x2f800000, v4
	v_trunc_f32_e32 v7, v7
	v_fmac_f32_e32 v4, 0xcf800000, v7
	v_cvt_u32_f32_e32 v7, v7
	v_cvt_u32_f32_e32 v4, v4
	v_mul_lo_u32 v8, s0, v7
	v_mul_hi_u32 v9, s0, v4
	v_mul_lo_u32 v10, s26, v4
	v_add_nc_u32_e32 v8, v9, v8
	v_mul_lo_u32 v9, s0, v4
	v_add_nc_u32_e32 v8, v8, v10
	v_mul_hi_u32 v10, v4, v9
	v_mul_lo_u32 v11, v4, v8
	v_mul_hi_u32 v12, v4, v8
	v_mul_hi_u32 v13, v7, v9
	v_mul_lo_u32 v9, v7, v9
	v_mul_hi_u32 v14, v7, v8
	v_mul_lo_u32 v8, v7, v8
	v_add_co_u32 v10, vcc_lo, v10, v11
	v_add_co_ci_u32_e32 v11, vcc_lo, 0, v12, vcc_lo
	v_add_co_u32 v9, vcc_lo, v10, v9
	v_add_co_ci_u32_e32 v9, vcc_lo, v11, v13, vcc_lo
	v_add_co_ci_u32_e32 v10, vcc_lo, 0, v14, vcc_lo
	v_add_co_u32 v8, vcc_lo, v9, v8
	v_add_co_ci_u32_e32 v9, vcc_lo, 0, v10, vcc_lo
	v_add_co_u32 v4, vcc_lo, v4, v8
	v_add_co_ci_u32_e32 v7, vcc_lo, v7, v9, vcc_lo
	v_mul_hi_u32 v8, s0, v4
	v_mul_lo_u32 v10, s26, v4
	v_mul_lo_u32 v9, s0, v7
	v_add_nc_u32_e32 v8, v8, v9
	v_mul_lo_u32 v9, s0, v4
	v_add_nc_u32_e32 v8, v8, v10
	v_mul_hi_u32 v10, v4, v9
	v_mul_lo_u32 v11, v4, v8
	v_mul_hi_u32 v12, v4, v8
	v_mul_hi_u32 v13, v7, v9
	v_mul_lo_u32 v9, v7, v9
	v_mul_hi_u32 v14, v7, v8
	v_mul_lo_u32 v8, v7, v8
	v_add_co_u32 v10, vcc_lo, v10, v11
	v_add_co_ci_u32_e32 v11, vcc_lo, 0, v12, vcc_lo
	v_add_co_u32 v9, vcc_lo, v10, v9
	v_add_co_ci_u32_e32 v9, vcc_lo, v11, v13, vcc_lo
	v_add_co_ci_u32_e32 v10, vcc_lo, 0, v14, vcc_lo
	v_add_co_u32 v8, vcc_lo, v9, v8
	v_add_co_ci_u32_e32 v9, vcc_lo, 0, v10, vcc_lo
	v_add_co_u32 v4, vcc_lo, v4, v8
	v_add_co_ci_u32_e32 v11, vcc_lo, v7, v9, vcc_lo
	v_mul_hi_u32 v13, v5, v4
	v_mad_u64_u32 v[9:10], null, v6, v4, 0
	v_mad_u64_u32 v[7:8], null, v5, v11, 0
	;; [unrolled: 1-line block ×3, first 2 shown]
	v_add_co_u32 v4, vcc_lo, v13, v7
	v_add_co_ci_u32_e32 v7, vcc_lo, 0, v8, vcc_lo
	v_add_co_u32 v4, vcc_lo, v4, v9
	v_add_co_ci_u32_e32 v4, vcc_lo, v7, v10, vcc_lo
	v_add_co_ci_u32_e32 v7, vcc_lo, 0, v12, vcc_lo
	v_add_co_u32 v4, vcc_lo, v4, v11
	v_add_co_ci_u32_e32 v9, vcc_lo, 0, v7, vcc_lo
	v_mul_lo_u32 v10, s25, v4
	v_mad_u64_u32 v[7:8], null, s24, v4, 0
	v_mul_lo_u32 v11, s24, v9
	v_sub_co_u32 v7, vcc_lo, v5, v7
	v_add3_u32 v8, v8, v11, v10
	v_sub_nc_u32_e32 v10, v6, v8
	v_subrev_co_ci_u32_e64 v10, s0, s25, v10, vcc_lo
	v_add_co_u32 v11, s0, v4, 2
	v_add_co_ci_u32_e64 v12, s0, 0, v9, s0
	v_sub_co_u32 v13, s0, v7, s24
	v_sub_co_ci_u32_e32 v8, vcc_lo, v6, v8, vcc_lo
	v_subrev_co_ci_u32_e64 v10, s0, 0, v10, s0
	v_cmp_le_u32_e32 vcc_lo, s24, v13
	v_cmp_eq_u32_e64 s0, s25, v8
	v_cndmask_b32_e64 v13, 0, -1, vcc_lo
	v_cmp_le_u32_e32 vcc_lo, s25, v10
	v_cndmask_b32_e64 v14, 0, -1, vcc_lo
	v_cmp_le_u32_e32 vcc_lo, s24, v7
	;; [unrolled: 2-line block ×3, first 2 shown]
	v_cndmask_b32_e64 v15, 0, -1, vcc_lo
	v_cmp_eq_u32_e32 vcc_lo, s25, v10
	v_cndmask_b32_e64 v7, v15, v7, s0
	v_cndmask_b32_e32 v10, v14, v13, vcc_lo
	v_add_co_u32 v13, vcc_lo, v4, 1
	v_add_co_ci_u32_e32 v14, vcc_lo, 0, v9, vcc_lo
	v_cmp_ne_u32_e32 vcc_lo, 0, v10
	v_cndmask_b32_e32 v8, v14, v12, vcc_lo
	v_cndmask_b32_e32 v10, v13, v11, vcc_lo
	v_cmp_ne_u32_e32 vcc_lo, 0, v7
	v_cndmask_b32_e32 v95, v9, v8, vcc_lo
	v_cndmask_b32_e32 v94, v4, v10, vcc_lo
.LBB0_4:                                ;   in Loop: Header=BB0_2 Depth=1
	s_andn2_saveexec_b32 s0, s1
	s_cbranch_execz .LBB0_6
; %bb.5:                                ;   in Loop: Header=BB0_2 Depth=1
	v_cvt_f32_u32_e32 v4, s24
	s_sub_i32 s1, 0, s24
	v_mov_b32_e32 v95, v3
	v_rcp_iflag_f32_e32 v4, v4
	v_mul_f32_e32 v4, 0x4f7ffffe, v4
	v_cvt_u32_f32_e32 v4, v4
	v_mul_lo_u32 v7, s1, v4
	v_mul_hi_u32 v7, v4, v7
	v_add_nc_u32_e32 v4, v4, v7
	v_mul_hi_u32 v4, v5, v4
	v_mul_lo_u32 v7, v4, s24
	v_add_nc_u32_e32 v8, 1, v4
	v_sub_nc_u32_e32 v7, v5, v7
	v_subrev_nc_u32_e32 v9, s24, v7
	v_cmp_le_u32_e32 vcc_lo, s24, v7
	v_cndmask_b32_e32 v7, v7, v9, vcc_lo
	v_cndmask_b32_e32 v4, v4, v8, vcc_lo
	v_cmp_le_u32_e32 vcc_lo, s24, v7
	v_add_nc_u32_e32 v8, 1, v4
	v_cndmask_b32_e32 v94, v4, v8, vcc_lo
.LBB0_6:                                ;   in Loop: Header=BB0_2 Depth=1
	s_or_b32 exec_lo, exec_lo, s0
	v_mul_lo_u32 v4, v95, s24
	v_mul_lo_u32 v9, v94, s25
	s_load_dwordx2 s[0:1], s[6:7], 0x0
	v_mad_u64_u32 v[7:8], null, v94, s24, 0
	s_load_dwordx2 s[24:25], s[2:3], 0x0
	s_add_u32 s22, s22, 1
	s_addc_u32 s23, s23, 0
	s_add_u32 s2, s2, 8
	s_addc_u32 s3, s3, 0
	s_add_u32 s6, s6, 8
	v_add3_u32 v4, v8, v9, v4
	v_sub_co_u32 v5, vcc_lo, v5, v7
	s_addc_u32 s7, s7, 0
	s_add_u32 s20, s20, 8
	v_sub_co_ci_u32_e32 v4, vcc_lo, v6, v4, vcc_lo
	s_addc_u32 s21, s21, 0
	s_waitcnt lgkmcnt(0)
	v_mul_lo_u32 v6, s0, v4
	v_mul_lo_u32 v7, s1, v5
	v_mad_u64_u32 v[1:2], null, s0, v5, v[1:2]
	v_mul_lo_u32 v4, s24, v4
	v_mul_lo_u32 v8, s25, v5
	v_mad_u64_u32 v[92:93], null, s24, v5, v[92:93]
	v_cmp_ge_u64_e64 s0, s[22:23], s[14:15]
	v_add3_u32 v2, v7, v2, v6
	v_add3_u32 v93, v8, v93, v4
	s_and_b32 vcc_lo, exec_lo, s0
	s_cbranch_vccnz .LBB0_9
; %bb.7:                                ;   in Loop: Header=BB0_2 Depth=1
	v_mov_b32_e32 v5, v94
	v_mov_b32_e32 v6, v95
	s_branch .LBB0_2
.LBB0_8:
	v_mov_b32_e32 v93, v2
	v_mov_b32_e32 v95, v6
	;; [unrolled: 1-line block ×4, first 2 shown]
.LBB0_9:
	s_load_dwordx2 s[0:1], s[4:5], 0x28
	v_mul_hi_u32 v3, 0x15e75bc, v0
	s_lshl_b64 s[4:5], s[14:15], 3
                                        ; implicit-def: $vgpr96
	s_add_u32 s2, s18, s4
	s_addc_u32 s3, s19, s5
	s_waitcnt lgkmcnt(0)
	v_cmp_gt_u64_e32 vcc_lo, s[0:1], v[94:95]
	v_cmp_le_u64_e64 s0, s[0:1], v[94:95]
	s_and_saveexec_b32 s1, s0
	s_xor_b32 s0, exec_lo, s1
; %bb.10:
	v_mul_u32_u24_e32 v1, 0xbb, v3
                                        ; implicit-def: $vgpr3
	v_sub_nc_u32_e32 v96, v0, v1
                                        ; implicit-def: $vgpr0
                                        ; implicit-def: $vgpr1_vgpr2
; %bb.11:
	s_andn2_saveexec_b32 s1, s0
	s_cbranch_execz .LBB0_13
; %bb.12:
	s_add_u32 s4, s16, s4
	s_addc_u32 s5, s17, s5
	v_lshlrev_b64 v[1:2], 4, v[1:2]
	s_load_dwordx2 s[4:5], s[4:5], 0x0
	s_waitcnt lgkmcnt(0)
	v_mul_lo_u32 v6, s5, v94
	v_mul_lo_u32 v7, s4, v95
	v_mad_u64_u32 v[4:5], null, s4, v94, 0
	v_add3_u32 v5, v5, v7, v6
	v_mul_u32_u24_e32 v6, 0xbb, v3
	v_lshlrev_b64 v[3:4], 4, v[4:5]
	v_sub_nc_u32_e32 v96, v0, v6
	v_lshlrev_b32_e32 v32, 4, v96
	v_add_co_u32 v0, s0, s8, v3
	v_add_co_ci_u32_e64 v3, s0, s9, v4, s0
	v_add_co_u32 v0, s0, v0, v1
	v_add_co_ci_u32_e64 v1, s0, v3, v2, s0
	;; [unrolled: 2-line block ×3, first 2 shown]
	v_add_nc_u32_e32 v32, 0, v32
	v_add_co_u32 v4, s0, 0x800, v0
	v_add_co_ci_u32_e64 v5, s0, 0, v1, s0
	v_add_co_u32 v8, s0, 0x1000, v0
	v_add_co_ci_u32_e64 v9, s0, 0, v1, s0
	;; [unrolled: 2-line block ×7, first 2 shown]
	s_clause 0x7
	global_load_dwordx4 v[0:3], v[0:1], off
	global_load_dwordx4 v[4:7], v[4:5], off offset:944
	global_load_dwordx4 v[8:11], v[8:9], off offset:1888
	global_load_dwordx4 v[12:15], v[12:13], off offset:784
	global_load_dwordx4 v[16:19], v[16:17], off offset:1728
	global_load_dwordx4 v[20:23], v[20:21], off offset:624
	global_load_dwordx4 v[24:27], v[24:25], off offset:1568
	global_load_dwordx4 v[28:31], v[28:29], off offset:464
	s_waitcnt vmcnt(7)
	ds_write_b128 v32, v[0:3]
	s_waitcnt vmcnt(6)
	ds_write_b128 v32, v[4:7] offset:2992
	s_waitcnt vmcnt(5)
	ds_write_b128 v32, v[8:11] offset:5984
	;; [unrolled: 2-line block ×7, first 2 shown]
.LBB0_13:
	s_or_b32 exec_lo, exec_lo, s1
	v_lshl_add_u32 v181, v96, 4, 0
	s_waitcnt lgkmcnt(0)
	s_barrier
	buffer_gl0_inv
	s_mov_b32 s4, 0x4363dd80
	ds_read_b128 v[12:15], v181 offset:22528
	ds_read_b128 v[28:31], v181 offset:1408
	;; [unrolled: 1-line block ×4, first 2 shown]
	s_mov_b32 s30, 0xacd6c6b4
	s_mov_b32 s5, 0xbfe0d888
	s_mov_b32 s31, 0xbfc7851a
	ds_read_b128 v[20:23], v181
	ds_read_b128 v[40:43], v181 offset:4224
	ds_read_b128 v[24:27], v181 offset:19712
	s_mov_b32 s6, 0x910ea3b9
	s_mov_b32 s8, 0x7c9e640b
	;; [unrolled: 1-line block ×8, first 2 shown]
	ds_read_b128 v[36:39], v181 offset:18304
	ds_read_b128 v[56:59], v181 offset:5632
	s_mov_b32 s14, 0x2b2883cd
	s_mov_b32 s18, 0xeb564b22
	;; [unrolled: 1-line block ×3, first 2 shown]
	s_waitcnt lgkmcnt(7)
	v_add_f64 v[97:98], v[30:31], -v[14:15]
	v_add_f64 v[88:89], v[28:29], -v[12:13]
	s_waitcnt lgkmcnt(5)
	v_add_f64 v[103:104], v[34:35], -v[18:19]
	v_add_f64 v[99:100], v[32:33], -v[16:17]
	v_add_f64 v[101:102], v[28:29], v[12:13]
	v_add_f64 v[105:106], v[30:31], v[14:15]
	s_waitcnt lgkmcnt(2)
	v_add_f64 v[121:122], v[42:43], -v[26:27]
	v_add_f64 v[107:108], v[40:41], -v[24:25]
	v_add_f64 v[109:110], v[32:33], v[16:17]
	v_add_f64 v[135:136], v[34:35], v[18:19]
	s_mov_b32 s15, 0x3fdc86fa
	s_mov_b32 s19, 0xbfefdd0d
	;; [unrolled: 1-line block ×3, first 2 shown]
	v_add_f64 v[125:126], v[40:41], v[24:25]
	v_add_f64 v[147:148], v[42:43], v[26:27]
	ds_read_b128 v[64:67], v181 offset:7040
	ds_read_b128 v[44:47], v181 offset:16896
	s_waitcnt lgkmcnt(2)
	v_add_f64 v[139:140], v[58:59], -v[38:39]
	v_add_f64 v[113:114], v[56:57], -v[36:37]
	s_mov_b32 s28, 0x3259b75e
	s_mov_b32 s20, 0x6c9a05f6
	;; [unrolled: 1-line block ×4, first 2 shown]
	v_mul_f64 v[84:85], v[97:98], s[4:5]
	v_mul_f64 v[86:87], v[88:89], s[4:5]
	;; [unrolled: 1-line block ×12, first 2 shown]
	s_mov_b32 s21, 0x3fe9895b
	s_mov_b32 s41, 0x3fe58eea
	v_add_f64 v[123:124], v[56:57], v[36:37]
	v_add_f64 v[149:150], v[58:59], v[38:39]
	s_waitcnt lgkmcnt(0)
	v_add_f64 v[137:138], v[66:67], -v[46:47]
	v_add_f64 v[111:112], v[64:65], -v[44:45]
	v_mul_f64 v[161:162], v[139:140], s[20:21]
	v_mul_f64 v[163:164], v[113:114], s[20:21]
	;; [unrolled: 1-line block ×4, first 2 shown]
	v_fma_f64 v[8:9], v[101:102], s[6:7], v[84:85]
	v_fma_f64 v[10:11], v[105:106], s[6:7], -v[86:87]
	v_fma_f64 v[48:49], v[101:102], s[34:35], -v[0:1]
	v_fma_f64 v[50:51], v[105:106], s[34:35], v[2:3]
	v_fma_f64 v[0:1], v[101:102], s[34:35], v[0:1]
	v_fma_f64 v[2:3], v[105:106], s[34:35], -v[2:3]
	v_fma_f64 v[60:61], v[109:110], s[14:15], v[173:174]
	v_fma_f64 v[62:63], v[135:136], s[14:15], -v[175:176]
	v_fma_f64 v[68:69], v[109:110], s[26:27], -v[4:5]
	v_fma_f64 v[70:71], v[135:136], s[26:27], v[6:7]
	v_fma_f64 v[4:5], v[109:110], s[26:27], v[4:5]
	v_fma_f64 v[6:7], v[135:136], s[26:27], -v[6:7]
	;; [unrolled: 6-line block ×3, first 2 shown]
	s_mov_b32 s24, 0x6ed5f1bb
	s_mov_b32 s38, 0x75d4884
	;; [unrolled: 1-line block ×4, first 2 shown]
	v_add_f64 v[8:9], v[20:21], v[8:9]
	v_add_f64 v[10:11], v[22:23], v[10:11]
	;; [unrolled: 1-line block ×6, first 2 shown]
	ds_read_b128 v[48:51], v181 offset:15488
	ds_read_b128 v[76:79], v181 offset:8448
	s_mov_b32 s39, 0x3fe7a5f6
	s_mov_b32 s37, 0xbfe9895b
	;; [unrolled: 1-line block ×4, first 2 shown]
	v_add_f64 v[127:128], v[64:65], v[44:45]
	v_add_f64 v[151:152], v[66:67], v[46:47]
	v_mul_f64 v[165:166], v[137:138], s[16:17]
	v_mul_f64 v[167:168], v[111:112], s[16:17]
	v_fma_f64 v[145:146], v[123:124], s[24:25], v[161:162]
	v_fma_f64 v[155:156], v[149:150], s[24:25], -v[163:164]
	v_fma_f64 v[157:158], v[123:124], s[38:39], -v[80:81]
	v_fma_f64 v[159:160], v[149:150], s[38:39], v[82:83]
	v_fma_f64 v[80:81], v[123:124], s[38:39], v[80:81]
	v_fma_f64 v[82:83], v[149:150], s[38:39], -v[82:83]
	v_add_f64 v[8:9], v[60:61], v[8:9]
	v_add_f64 v[10:11], v[62:63], v[10:11]
	;; [unrolled: 1-line block ×6, first 2 shown]
	s_waitcnt lgkmcnt(0)
	v_add_f64 v[141:142], v[78:79], -v[50:51]
	v_add_f64 v[115:116], v[76:77], -v[48:49]
	v_mul_f64 v[4:5], v[137:138], s[36:37]
	v_mul_f64 v[6:7], v[111:112], s[36:37]
	ds_read_b128 v[68:71], v181 offset:9856
	ds_read_b128 v[52:55], v181 offset:14080
	v_add_f64 v[153:154], v[78:79], v[50:51]
	s_mov_b32 s42, 0x923c349f
	s_mov_b32 s43, 0xbfeec746
	v_fma_f64 v[184:185], v[127:128], s[26:27], v[165:166]
	v_fma_f64 v[186:187], v[151:152], s[26:27], -v[167:168]
	s_mov_b32 s44, 0xc61f0d01
	s_mov_b32 s45, 0xbfd183b1
	;; [unrolled: 1-line block ×4, first 2 shown]
	s_mov_b32 s33, exec_lo
	v_add_f64 v[8:9], v[90:91], v[8:9]
	v_add_f64 v[10:11], v[117:118], v[10:11]
	;; [unrolled: 1-line block ×7, first 2 shown]
	v_mul_f64 v[169:170], v[141:142], s[30:31]
	s_waitcnt lgkmcnt(0)
	v_add_f64 v[143:144], v[70:71], -v[54:55]
	v_add_f64 v[117:118], v[68:69], -v[52:53]
	v_mul_f64 v[171:172], v[115:116], s[30:31]
	v_mul_f64 v[133:134], v[141:142], s[8:9]
	;; [unrolled: 1-line block ×3, first 2 shown]
	v_fma_f64 v[188:189], v[127:128], s[24:25], -v[4:5]
	v_fma_f64 v[190:191], v[151:152], s[24:25], v[6:7]
	v_fma_f64 v[4:5], v[127:128], s[24:25], v[4:5]
	v_fma_f64 v[6:7], v[151:152], s[24:25], -v[6:7]
	ds_read_b128 v[72:75], v181 offset:11264
	ds_read_b128 v[60:63], v181 offset:12672
	v_add_f64 v[131:132], v[68:69], v[52:53]
	s_waitcnt lgkmcnt(0)
	s_barrier
	buffer_gl0_inv
	v_add_f64 v[8:9], v[145:146], v[8:9]
	v_add_f64 v[10:11], v[155:156], v[10:11]
	;; [unrolled: 1-line block ×7, first 2 shown]
	v_fma_f64 v[198:199], v[129:130], s[34:35], v[169:170]
	v_mul_f64 v[90:91], v[143:144], s[40:41]
	v_mul_f64 v[159:160], v[117:118], s[40:41]
	;; [unrolled: 1-line block ×4, first 2 shown]
	v_fma_f64 v[200:201], v[153:154], s[34:35], -v[171:172]
	v_fma_f64 v[202:203], v[129:130], s[14:15], -v[133:134]
	v_fma_f64 v[204:205], v[153:154], s[14:15], v[182:183]
	v_add_f64 v[145:146], v[74:75], -v[62:63]
	v_add_f64 v[119:120], v[72:73], -v[60:61]
	v_fma_f64 v[206:207], v[129:130], s[14:15], v[133:134]
	v_fma_f64 v[182:183], v[153:154], s[14:15], -v[182:183]
	v_add_f64 v[133:134], v[72:73], v[60:61]
	v_add_f64 v[8:9], v[184:185], v[8:9]
	;; [unrolled: 1-line block ×8, first 2 shown]
	v_fma_f64 v[188:189], v[131:132], s[38:39], v[90:91]
	v_fma_f64 v[190:191], v[155:156], s[38:39], -v[159:160]
	v_fma_f64 v[192:193], v[131:132], s[44:45], -v[194:195]
	v_fma_f64 v[208:209], v[155:156], s[44:45], v[196:197]
	v_fma_f64 v[194:195], v[131:132], s[44:45], v[194:195]
	v_fma_f64 v[196:197], v[155:156], s[44:45], -v[196:197]
	v_mul_f64 v[80:81], v[145:146], s[42:43]
	v_mul_f64 v[82:83], v[119:120], s[42:43]
	;; [unrolled: 1-line block ×4, first 2 shown]
	v_add_f64 v[8:9], v[198:199], v[8:9]
	v_add_f64 v[10:11], v[200:201], v[10:11]
	v_add_f64 v[184:185], v[202:203], v[184:185]
	v_add_f64 v[186:187], v[204:205], v[186:187]
	v_add_f64 v[0:1], v[206:207], v[0:1]
	v_add_f64 v[2:3], v[182:183], v[2:3]
	v_fma_f64 v[182:183], v[133:134], s[44:45], v[80:81]
	v_fma_f64 v[198:199], v[157:158], s[44:45], -v[82:83]
	v_fma_f64 v[200:201], v[133:134], s[28:29], -v[4:5]
	v_fma_f64 v[202:203], v[157:158], s[28:29], v[6:7]
	v_fma_f64 v[4:5], v[133:134], s[28:29], v[4:5]
	v_fma_f64 v[6:7], v[157:158], s[28:29], -v[6:7]
	v_add_f64 v[8:9], v[188:189], v[8:9]
	v_add_f64 v[10:11], v[190:191], v[10:11]
	;; [unrolled: 1-line block ×12, first 2 shown]
	v_cmpx_gt_u32_e32 0x58, v96
	s_cbranch_execz .LBB0_15
; %bb.14:
	v_mul_f64 v[182:183], v[105:106], s[6:7]
	v_mul_f64 v[184:185], v[101:102], s[6:7]
	;; [unrolled: 1-line block ×4, first 2 shown]
	s_mov_b32 s51, 0x3feec746
	s_mov_b32 s50, s42
	v_mul_f64 v[190:191], v[109:110], s[14:15]
	v_mul_f64 v[192:193], v[135:136], s[14:15]
	;; [unrolled: 1-line block ×12, first 2 shown]
	s_mov_b32 s53, 0x3fe0d888
	s_mov_b32 s52, s4
	v_mul_f64 v[198:199], v[123:124], s[24:25]
	v_mul_f64 v[236:237], v[149:150], s[6:7]
	v_add_f64 v[86:87], v[86:87], v[182:183]
	v_add_f64 v[84:85], v[184:185], -v[84:85]
	v_fma_f64 v[182:183], v[88:89], s[20:21], v[186:187]
	v_fma_f64 v[184:185], v[101:102], s[24:25], v[188:189]
	;; [unrolled: 1-line block ×3, first 2 shown]
	v_fma_f64 v[188:189], v[101:102], s[24:25], -v[188:189]
	v_add_f64 v[173:174], v[190:191], -v[173:174]
	v_add_f64 v[175:176], v[175:176], v[192:193]
	v_fma_f64 v[190:191], v[99:100], s[42:43], v[210:211]
	v_fma_f64 v[192:193], v[99:100], s[50:51], v[210:211]
	;; [unrolled: 1-line block ×3, first 2 shown]
	v_add_f64 v[179:180], v[179:180], v[196:197]
	v_fma_f64 v[196:197], v[88:89], s[42:43], v[230:231]
	v_mul_f64 v[244:245], v[139:140], s[4:5]
	v_add_f64 v[177:178], v[194:195], -v[177:178]
	v_fma_f64 v[194:195], v[107:108], s[22:23], v[226:227]
	v_fma_f64 v[248:249], v[125:126], s[26:27], v[228:229]
	;; [unrolled: 1-line block ×3, first 2 shown]
	v_add_f64 v[163:164], v[163:164], v[200:201]
	v_fma_f64 v[200:201], v[99:100], s[52:53], v[246:247]
	v_fma_f64 v[214:215], v[109:110], s[44:45], -v[214:215]
	v_mul_f64 v[202:203], v[127:128], s[26:27]
	v_add_f64 v[86:87], v[22:23], v[86:87]
	v_add_f64 v[84:85], v[20:21], v[84:85]
	;; [unrolled: 1-line block ×6, first 2 shown]
	v_mul_f64 v[204:205], v[151:152], s[26:27]
	v_mul_f64 v[234:235], v[151:152], s[28:29]
	v_add_f64 v[161:162], v[198:199], -v[161:162]
	v_fma_f64 v[198:199], v[113:114], s[52:53], v[236:237]
	v_fma_f64 v[236:237], v[113:114], s[4:5], v[236:237]
	v_mul_f64 v[208:209], v[153:154], s[34:35]
	v_add_f64 v[196:197], v[22:23], v[196:197]
	v_fma_f64 v[250:251], v[123:124], s[6:7], v[244:245]
	v_fma_f64 v[228:229], v[125:126], s[26:27], -v[228:229]
	s_mov_b32 s49, 0xbfeca52d
	s_mov_b32 s48, s8
	;; [unrolled: 1-line block ×4, first 2 shown]
	v_mul_f64 v[206:207], v[129:130], s[34:35]
	v_mul_f64 v[232:233], v[153:154], s[38:39]
	v_add_f64 v[202:203], v[202:203], -v[165:166]
	v_add_f64 v[86:87], v[175:176], v[86:87]
	v_add_f64 v[84:85], v[173:174], v[84:85]
	;; [unrolled: 1-line block ×5, first 2 shown]
	v_fma_f64 v[184:185], v[88:89], s[50:51], v[230:231]
	v_mul_f64 v[190:191], v[103:104], s[52:53]
	v_fma_f64 v[192:193], v[101:102], s[44:45], v[238:239]
	v_mul_f64 v[230:231], v[147:148], s[38:39]
	v_mul_f64 v[186:187], v[137:138], s[46:47]
	v_add_f64 v[188:189], v[214:215], v[188:189]
	v_add_f64 v[167:168], v[167:168], v[204:205]
	;; [unrolled: 1-line block ×3, first 2 shown]
	v_fma_f64 v[204:205], v[111:112], s[18:19], v[234:235]
	v_fma_f64 v[214:215], v[111:112], s[46:47], v[234:235]
	v_mul_f64 v[212:213], v[131:132], s[38:39]
	v_add_f64 v[171:172], v[171:172], v[208:209]
	v_fma_f64 v[208:209], v[123:124], s[6:7], -v[244:245]
	v_mul_f64 v[216:217], v[155:156], s[38:39]
	v_mul_f64 v[224:225], v[155:156], s[34:35]
	;; [unrolled: 1-line block ×3, first 2 shown]
	v_add_f64 v[169:170], v[206:207], -v[169:170]
	v_add_f64 v[86:87], v[179:180], v[86:87]
	v_add_f64 v[84:85], v[177:178], v[84:85]
	;; [unrolled: 1-line block ×5, first 2 shown]
	v_fma_f64 v[182:183], v[99:100], s[4:5], v[246:247]
	v_add_f64 v[184:185], v[22:23], v[184:185]
	v_mul_f64 v[194:195], v[121:122], s[40:41]
	v_fma_f64 v[226:227], v[109:110], s[6:7], v[190:191]
	v_add_f64 v[192:193], v[20:21], v[192:193]
	v_mul_f64 v[246:247], v[149:150], s[14:15]
	v_fma_f64 v[252:253], v[107:108], s[40:41], v[230:231]
	v_mul_f64 v[248:249], v[141:142], s[54:55]
	v_fma_f64 v[200:201], v[127:128], s[28:29], v[186:187]
	v_add_f64 v[188:189], v[228:229], v[188:189]
	v_fma_f64 v[206:207], v[115:116], s[40:41], v[232:233]
	v_fma_f64 v[228:229], v[115:116], s[54:55], v[232:233]
	v_add_f64 v[90:91], v[212:213], -v[90:91]
	v_fma_f64 v[212:213], v[101:102], s[44:45], -v[238:239]
	v_mul_f64 v[218:219], v[133:134], s[44:45]
	v_mul_f64 v[220:221], v[157:158], s[44:45]
	v_fma_f64 v[186:187], v[127:128], s[28:29], -v[186:187]
	v_add_f64 v[86:87], v[163:164], v[86:87]
	v_add_f64 v[84:85], v[161:162], v[84:85]
	;; [unrolled: 1-line block ×5, first 2 shown]
	v_fma_f64 v[177:178], v[107:108], s[54:55], v[230:231]
	v_add_f64 v[182:183], v[182:183], v[184:185]
	v_mul_f64 v[184:185], v[139:140], s[48:49]
	v_fma_f64 v[198:199], v[125:126], s[38:39], v[194:195]
	v_add_f64 v[192:193], v[226:227], v[192:193]
	v_mul_f64 v[226:227], v[151:152], s[34:35]
	v_fma_f64 v[230:231], v[113:114], s[48:49], v[246:247]
	v_add_f64 v[196:197], v[252:253], v[196:197]
	v_fma_f64 v[232:233], v[129:130], s[38:39], v[248:249]
	v_mul_f64 v[175:176], v[153:154], s[28:29]
	v_add_f64 v[188:189], v[208:209], v[188:189]
	s_mov_b32 s1, 0x3fc7851a
	s_mov_b32 s0, s30
	v_mul_f64 v[240:241], v[145:146], s[8:9]
	v_mul_f64 v[165:166], v[141:142], s[46:47]
	v_add_f64 v[159:160], v[159:160], v[216:217]
	v_fma_f64 v[208:209], v[131:132], s[34:35], v[242:243]
	v_add_f64 v[86:87], v[167:168], v[86:87]
	v_add_f64 v[84:85], v[202:203], v[84:85]
	;; [unrolled: 1-line block ×5, first 2 shown]
	v_mul_f64 v[173:174], v[137:138], s[30:31]
	v_fma_f64 v[200:201], v[113:114], s[8:9], v[246:247]
	v_add_f64 v[177:178], v[177:178], v[182:183]
	v_fma_f64 v[202:203], v[123:124], s[14:15], v[184:185]
	v_add_f64 v[192:193], v[198:199], v[192:193]
	v_fma_f64 v[214:215], v[111:112], s[30:31], v[226:227]
	v_mul_f64 v[198:199], v[105:106], s[28:29]
	v_add_f64 v[196:197], v[230:231], v[196:197]
	v_fma_f64 v[204:205], v[117:118], s[0:1], v[224:225]
	v_fma_f64 v[216:217], v[117:118], s[30:31], v[224:225]
	v_fma_f64 v[190:191], v[109:110], s[6:7], -v[190:191]
	v_add_f64 v[212:213], v[20:21], v[212:213]
	v_mul_f64 v[222:223], v[157:158], s[14:15]
	v_mul_f64 v[179:180], v[155:156], s[26:27]
	v_add_f64 v[82:83], v[82:83], v[220:221]
	v_add_f64 v[80:81], v[218:219], -v[80:81]
	v_fma_f64 v[218:219], v[115:116], s[46:47], v[175:176]
	v_add_f64 v[86:87], v[171:172], v[86:87]
	v_add_f64 v[84:85], v[169:170], v[84:85]
	;; [unrolled: 1-line block ×5, first 2 shown]
	v_mul_f64 v[169:170], v[97:98], s[18:19]
	v_fma_f64 v[171:172], v[111:112], s[0:1], v[226:227]
	v_add_f64 v[177:178], v[200:201], v[177:178]
	v_fma_f64 v[200:201], v[127:128], s[34:35], v[173:174]
	v_add_f64 v[192:193], v[202:203], v[192:193]
	v_fma_f64 v[220:221], v[129:130], s[38:39], -v[248:249]
	v_add_f64 v[186:187], v[186:187], v[188:189]
	v_add_f64 v[196:197], v[214:215], v[196:197]
	v_mul_f64 v[182:183], v[135:136], s[34:35]
	v_fma_f64 v[206:207], v[133:134], s[14:15], v[240:241]
	v_fma_f64 v[214:215], v[88:89], s[46:47], v[198:199]
	v_mul_f64 v[210:211], v[157:158], s[24:25]
	v_fma_f64 v[194:195], v[125:126], s[38:39], -v[194:195]
	v_add_f64 v[190:191], v[190:191], v[212:213]
	v_fma_f64 v[202:203], v[119:120], s[48:49], v[222:223]
	v_fma_f64 v[188:189], v[119:120], s[8:9], v[222:223]
	;; [unrolled: 1-line block ×3, first 2 shown]
	v_add_f64 v[86:87], v[159:160], v[86:87]
	v_add_f64 v[84:85], v[90:91], v[84:85]
	;; [unrolled: 1-line block ×5, first 2 shown]
	v_fma_f64 v[163:164], v[115:116], s[18:19], v[175:176]
	v_fma_f64 v[216:217], v[101:102], s[28:29], v[169:170]
	v_add_f64 v[171:172], v[171:172], v[177:178]
	v_fma_f64 v[177:178], v[129:130], s[28:29], v[165:166]
	v_add_f64 v[192:193], v[200:201], v[192:193]
	v_mul_f64 v[200:201], v[103:104], s[30:31]
	v_fma_f64 v[204:205], v[131:132], s[34:35], -v[242:243]
	v_fma_f64 v[208:209], v[117:118], s[16:17], v[179:180]
	v_add_f64 v[196:197], v[218:219], v[196:197]
	v_add_f64 v[186:187], v[220:221], v[186:187]
	v_mul_f64 v[167:168], v[143:144], s[16:17]
	v_mul_f64 v[175:176], v[147:148], s[44:45]
	v_fma_f64 v[212:213], v[99:100], s[0:1], v[182:183]
	v_add_f64 v[214:215], v[22:23], v[214:215]
	v_fma_f64 v[179:180], v[117:118], s[22:23], v[179:180]
	v_mul_f64 v[218:219], v[105:106], s[14:15]
	v_add_f64 v[190:191], v[194:195], v[190:191]
	v_fma_f64 v[194:195], v[119:120], s[36:37], v[210:211]
	v_add_f64 v[84:85], v[80:81], v[84:85]
	v_add_f64 v[30:31], v[22:23], v[30:31]
	;; [unrolled: 1-line block ×7, first 2 shown]
	v_fma_f64 v[163:164], v[119:120], s[20:21], v[210:211]
	v_add_f64 v[177:178], v[177:178], v[192:193]
	v_mul_f64 v[192:193], v[121:122], s[50:51]
	v_fma_f64 v[206:207], v[109:110], s[34:35], v[200:201]
	v_add_f64 v[210:211], v[20:21], v[28:29]
	v_add_f64 v[90:91], v[188:189], v[161:162]
	v_add_f64 v[196:197], v[208:209], v[196:197]
	v_add_f64 v[161:162], v[204:205], v[186:187]
	v_mul_f64 v[204:205], v[97:98], s[48:49]
	v_fma_f64 v[202:203], v[131:132], s[26:27], v[167:168]
	v_fma_f64 v[184:185], v[123:124], s[14:15], -v[184:185]
	v_mul_f64 v[186:187], v[149:150], s[26:27]
	v_fma_f64 v[182:183], v[99:100], s[30:31], v[182:183]
	v_add_f64 v[198:199], v[22:23], v[198:199]
	v_fma_f64 v[208:209], v[107:108], s[42:43], v[175:176]
	v_add_f64 v[212:213], v[212:213], v[214:215]
	v_fma_f64 v[169:170], v[101:102], s[28:29], -v[169:170]
	v_mul_f64 v[222:223], v[135:136], s[24:25]
	v_fma_f64 v[224:225], v[88:89], s[8:9], v[218:219]
	v_add_f64 v[30:31], v[30:31], v[34:35]
	v_fma_f64 v[175:176], v[107:108], s[50:51], v[175:176]
	v_add_f64 v[171:172], v[179:180], v[171:172]
	v_mul_f64 v[179:180], v[139:140], s[22:23]
	v_mul_f64 v[34:35], v[137:138], s[48:49]
	v_fma_f64 v[220:221], v[125:126], s[44:45], v[192:193]
	v_add_f64 v[206:207], v[206:207], v[216:217]
	v_add_f64 v[32:33], v[210:211], v[32:33]
	v_fma_f64 v[210:211], v[88:89], s[48:49], v[218:219]
	v_add_f64 v[28:29], v[194:195], v[196:197]
	v_mul_f64 v[194:195], v[103:104], s[36:37]
	v_fma_f64 v[196:197], v[101:102], s[14:15], v[204:205]
	v_add_f64 v[177:178], v[202:203], v[177:178]
	v_add_f64 v[184:185], v[184:185], v[190:191]
	v_mul_f64 v[190:191], v[151:152], s[14:15]
	v_fma_f64 v[200:201], v[109:110], s[34:35], -v[200:201]
	v_add_f64 v[182:183], v[182:183], v[198:199]
	v_fma_f64 v[198:199], v[113:114], s[16:17], v[186:187]
	v_add_f64 v[202:203], v[208:209], v[212:213]
	v_add_f64 v[169:170], v[20:21], v[169:170]
	v_mul_f64 v[212:213], v[147:148], s[34:35]
	v_fma_f64 v[216:217], v[99:100], s[20:21], v[222:223]
	v_add_f64 v[218:219], v[22:23], v[224:225]
	v_add_f64 v[30:31], v[30:31], v[42:43]
	v_fma_f64 v[173:174], v[127:128], s[34:35], -v[173:174]
	v_fma_f64 v[208:209], v[123:124], s[26:27], v[179:180]
	v_fma_f64 v[186:187], v[113:114], s[22:23], v[186:187]
	;; [unrolled: 1-line block ×3, first 2 shown]
	v_add_f64 v[206:207], v[220:221], v[206:207]
	v_add_f64 v[32:33], v[32:33], v[40:41]
	v_mul_f64 v[220:221], v[121:122], s[0:1]
	v_fma_f64 v[40:41], v[127:128], s[14:15], v[34:35]
	v_fma_f64 v[224:225], v[109:110], s[24:25], v[194:195]
	v_add_f64 v[196:197], v[20:21], v[196:197]
	v_add_f64 v[210:211], v[22:23], v[210:211]
	v_fma_f64 v[192:193], v[125:126], s[44:45], -v[192:193]
	v_fma_f64 v[165:166], v[129:130], s[28:29], -v[165:166]
	;; [unrolled: 1-line block ×3, first 2 shown]
	v_add_f64 v[175:176], v[175:176], v[182:183]
	v_fma_f64 v[182:183], v[111:112], s[8:9], v[190:191]
	v_add_f64 v[198:199], v[198:199], v[202:203]
	v_mul_f64 v[202:203], v[141:142], s[4:5]
	v_add_f64 v[169:170], v[200:201], v[169:170]
	v_mul_f64 v[200:201], v[149:150], s[44:45]
	v_fma_f64 v[222:223], v[107:108], s[30:31], v[212:213]
	v_add_f64 v[216:217], v[216:217], v[218:219]
	v_add_f64 v[30:31], v[30:31], v[58:59]
	;; [unrolled: 1-line block ×3, first 2 shown]
	v_mul_f64 v[184:185], v[153:154], s[6:7]
	v_fma_f64 v[190:191], v[111:112], s[48:49], v[190:191]
	v_add_f64 v[206:207], v[208:209], v[206:207]
	v_add_f64 v[32:33], v[32:33], v[56:57]
	v_mul_f64 v[208:209], v[139:140], s[50:51]
	v_fma_f64 v[218:219], v[125:126], s[34:35], v[220:221]
	v_fma_f64 v[58:59], v[107:108], s[0:1], v[212:213]
	v_add_f64 v[196:197], v[224:225], v[196:197]
	v_add_f64 v[42:43], v[42:43], v[210:211]
	v_fma_f64 v[179:180], v[123:124], s[26:27], -v[179:180]
	v_mul_f64 v[188:189], v[145:146], s[36:37]
	v_fma_f64 v[194:195], v[109:110], s[24:25], -v[194:195]
	v_add_f64 v[175:176], v[186:187], v[175:176]
	v_add_f64 v[204:205], v[20:21], v[204:205]
	;; [unrolled: 1-line block ×3, first 2 shown]
	v_mul_f64 v[198:199], v[143:144], s[20:21]
	v_fma_f64 v[56:57], v[129:130], s[6:7], v[202:203]
	v_add_f64 v[169:170], v[192:193], v[169:170]
	v_mul_f64 v[192:193], v[151:152], s[38:39]
	v_fma_f64 v[210:211], v[113:114], s[42:43], v[200:201]
	v_add_f64 v[212:213], v[222:223], v[216:217]
	v_add_f64 v[30:31], v[30:31], v[66:67]
	;; [unrolled: 1-line block ×3, first 2 shown]
	v_mul_f64 v[173:174], v[155:156], s[24:25]
	v_add_f64 v[40:41], v[40:41], v[206:207]
	v_add_f64 v[32:33], v[32:33], v[64:65]
	v_fma_f64 v[186:187], v[115:116], s[52:53], v[184:185]
	v_mul_f64 v[216:217], v[137:138], s[40:41]
	v_fma_f64 v[222:223], v[123:124], s[44:45], v[208:209]
	v_add_f64 v[196:197], v[218:219], v[196:197]
	v_fma_f64 v[184:185], v[115:116], s[4:5], v[184:185]
	v_fma_f64 v[66:67], v[113:114], s[50:51], v[200:201]
	v_add_f64 v[42:43], v[58:59], v[42:43]
	v_fma_f64 v[214:215], v[133:134], s[24:25], v[188:189]
	v_add_f64 v[175:176], v[190:191], v[175:176]
	v_add_f64 v[194:195], v[194:195], v[204:205]
	v_mul_f64 v[204:205], v[141:142], s[16:17]
	v_fma_f64 v[64:65], v[131:132], s[24:25], v[198:199]
	v_fma_f64 v[167:168], v[131:132], s[26:27], -v[167:168]
	v_add_f64 v[58:59], v[179:180], v[169:170]
	v_mul_f64 v[169:170], v[153:154], s[26:27]
	v_fma_f64 v[179:180], v[111:112], s[54:55], v[192:193]
	v_add_f64 v[200:201], v[210:211], v[212:213]
	v_add_f64 v[30:31], v[30:31], v[78:79]
	v_fma_f64 v[78:79], v[111:112], s[40:41], v[192:193]
	v_fma_f64 v[190:191], v[117:118], s[36:37], v[173:174]
	v_add_f64 v[40:41], v[56:57], v[40:41]
	v_add_f64 v[32:33], v[32:33], v[76:77]
	;; [unrolled: 1-line block ×3, first 2 shown]
	v_fma_f64 v[56:57], v[133:134], s[24:25], -v[188:189]
	v_fma_f64 v[188:189], v[125:126], s[34:35], -v[220:221]
	v_fma_f64 v[210:211], v[127:128], s[38:39], v[216:217]
	v_add_f64 v[196:197], v[222:223], v[196:197]
	v_mul_f64 v[186:187], v[145:146], s[40:41]
	v_fma_f64 v[173:174], v[117:118], s[20:21], v[173:174]
	v_add_f64 v[42:43], v[66:67], v[42:43]
	v_add_f64 v[175:176], v[184:185], v[175:176]
	v_mul_f64 v[206:207], v[157:158], s[38:39]
	v_fma_f64 v[34:35], v[127:128], s[14:15], -v[34:35]
	v_fma_f64 v[66:67], v[129:130], s[6:7], -v[202:203]
	v_add_f64 v[165:166], v[167:168], v[165:166]
	v_mul_f64 v[202:203], v[145:146], s[4:5]
	v_fma_f64 v[184:185], v[115:116], s[22:23], v[169:170]
	v_fma_f64 v[169:170], v[115:116], s[16:17], v[169:170]
	v_add_f64 v[179:180], v[179:180], v[200:201]
	v_add_f64 v[30:31], v[30:31], v[70:71]
	v_fma_f64 v[200:201], v[129:130], s[26:27], v[204:205]
	v_mul_f64 v[70:71], v[97:98], s[54:55]
	v_add_f64 v[64:65], v[64:65], v[40:41]
	v_mul_f64 v[40:41], v[105:106], s[38:39]
	v_add_f64 v[32:33], v[32:33], v[68:69]
	v_add_f64 v[182:183], v[190:191], v[182:183]
	v_fma_f64 v[190:191], v[123:124], s[44:45], -v[208:209]
	v_add_f64 v[188:189], v[188:189], v[194:195]
	v_add_f64 v[196:197], v[210:211], v[196:197]
	v_mul_f64 v[105:106], v[105:106], s[26:27]
	v_mul_f64 v[68:69], v[97:98], s[16:17]
	v_fma_f64 v[76:77], v[133:134], s[38:39], v[186:187]
	v_mul_f64 v[194:195], v[143:144], s[18:19]
	v_add_f64 v[173:174], v[173:174], v[175:176]
	v_fma_f64 v[175:176], v[133:134], s[38:39], -v[186:187]
	v_add_f64 v[42:43], v[78:79], v[42:43]
	v_fma_f64 v[78:79], v[131:132], s[24:25], -v[198:199]
	v_fma_f64 v[198:199], v[127:128], s[38:39], -v[216:217]
	v_fma_f64 v[167:168], v[119:120], s[54:55], v[206:207]
	v_fma_f64 v[192:193], v[119:120], s[40:41], v[206:207]
	v_add_f64 v[179:180], v[184:185], v[179:180]
	v_mul_f64 v[184:185], v[135:136], s[28:29]
	v_add_f64 v[30:31], v[30:31], v[74:75]
	v_mul_f64 v[135:136], v[135:136], s[38:39]
	v_fma_f64 v[74:75], v[101:102], s[38:39], -v[70:71]
	v_fma_f64 v[186:187], v[88:89], s[54:55], v[40:41]
	v_add_f64 v[32:33], v[32:33], v[72:73]
	v_fma_f64 v[40:41], v[88:89], s[40:41], v[40:41]
	v_fma_f64 v[70:71], v[101:102], s[38:39], v[70:71]
	v_add_f64 v[188:189], v[190:191], v[188:189]
	v_mul_f64 v[190:191], v[103:104], s[18:19]
	v_add_f64 v[196:197], v[200:201], v[196:197]
	v_fma_f64 v[200:201], v[88:89], s[16:17], v[105:106]
	v_mul_f64 v[103:104], v[103:104], s[54:55]
	v_fma_f64 v[72:73], v[101:102], s[26:27], -v[68:69]
	v_fma_f64 v[206:207], v[131:132], s[28:29], v[194:195]
	v_fma_f64 v[88:89], v[88:89], s[22:23], v[105:106]
	v_add_f64 v[42:43], v[169:170], v[42:43]
	v_fma_f64 v[169:170], v[131:132], s[28:29], -v[194:195]
	v_fma_f64 v[194:195], v[129:130], s[26:27], -v[204:205]
	v_mul_f64 v[204:205], v[147:148], s[24:25]
	v_fma_f64 v[68:69], v[101:102], s[26:27], v[68:69]
	v_mul_f64 v[210:211], v[121:122], s[36:37]
	v_fma_f64 v[208:209], v[99:100], s[18:19], v[184:185]
	v_add_f64 v[30:31], v[30:31], v[62:63]
	v_mul_f64 v[105:106], v[147:148], s[14:15]
	v_mul_f64 v[101:102], v[121:122], s[48:49]
	v_add_f64 v[186:187], v[22:23], v[186:187]
	v_add_f64 v[32:33], v[32:33], v[60:61]
	v_fma_f64 v[121:122], v[99:100], s[54:55], v[135:136]
	v_add_f64 v[62:63], v[20:21], v[74:75]
	v_add_f64 v[188:189], v[198:199], v[188:189]
	v_fma_f64 v[198:199], v[109:110], s[28:29], -v[190:191]
	v_fma_f64 v[74:75], v[99:100], s[46:47], v[184:185]
	v_add_f64 v[147:148], v[22:23], v[200:201]
	v_fma_f64 v[200:201], v[109:110], s[38:39], -v[103:104]
	v_add_f64 v[60:61], v[20:21], v[72:73]
	v_add_f64 v[40:41], v[22:23], v[40:41]
	v_fma_f64 v[190:191], v[109:110], s[28:29], v[190:191]
	v_add_f64 v[70:71], v[20:21], v[70:71]
	v_mul_f64 v[72:73], v[149:150], s[34:35]
	v_fma_f64 v[99:100], v[99:100], s[40:41], v[135:136]
	v_fma_f64 v[212:213], v[107:108], s[36:37], v[204:205]
	v_add_f64 v[22:23], v[22:23], v[88:89]
	v_fma_f64 v[88:89], v[109:110], s[38:39], v[103:104]
	v_add_f64 v[20:21], v[20:21], v[68:69]
	v_add_f64 v[30:31], v[30:31], v[54:55]
	v_mul_f64 v[149:150], v[149:150], s[28:29]
	v_mul_f64 v[68:69], v[139:140], s[18:19]
	v_add_f64 v[186:187], v[208:209], v[186:187]
	v_add_f64 v[32:33], v[32:33], v[52:53]
	v_fma_f64 v[103:104], v[107:108], s[48:49], v[105:106]
	v_mul_f64 v[184:185], v[139:140], s[30:31]
	v_fma_f64 v[208:209], v[125:126], s[24:25], -v[210:211]
	v_add_f64 v[54:55], v[198:199], v[62:63]
	v_fma_f64 v[62:63], v[107:108], s[20:21], v[204:205]
	v_add_f64 v[109:110], v[121:122], v[147:148]
	v_fma_f64 v[121:122], v[125:126], s[14:15], -v[101:102]
	v_add_f64 v[52:53], v[200:201], v[60:61]
	v_add_f64 v[40:41], v[74:75], v[40:41]
	v_fma_f64 v[135:136], v[125:126], s[24:25], v[210:211]
	v_add_f64 v[70:71], v[190:191], v[70:71]
	v_mul_f64 v[60:61], v[151:152], s[6:7]
	v_fma_f64 v[139:140], v[113:114], s[30:31], v[72:73]
	v_fma_f64 v[105:106], v[107:108], s[8:9], v[105:106]
	v_add_f64 v[22:23], v[99:100], v[22:23]
	v_fma_f64 v[99:100], v[125:126], s[14:15], v[101:102]
	v_add_f64 v[20:21], v[88:89], v[20:21]
	v_add_f64 v[30:31], v[30:31], v[50:51]
	v_mul_f64 v[151:152], v[151:152], s[44:45]
	v_mul_f64 v[88:89], v[137:138], s[42:43]
	v_add_f64 v[147:148], v[212:213], v[186:187]
	v_add_f64 v[32:33], v[32:33], v[48:49]
	v_fma_f64 v[101:102], v[113:114], s[18:19], v[149:150]
	v_fma_f64 v[107:108], v[123:124], s[28:29], -v[68:69]
	v_mul_f64 v[74:75], v[137:138], s[52:53]
	v_fma_f64 v[186:187], v[123:124], s[34:35], -v[184:185]
	v_add_f64 v[50:51], v[208:209], v[54:55]
	v_add_f64 v[103:104], v[103:104], v[109:110]
	v_fma_f64 v[54:55], v[113:114], s[0:1], v[72:73]
	v_add_f64 v[48:49], v[121:122], v[52:53]
	v_add_f64 v[40:41], v[62:63], v[40:41]
	v_fma_f64 v[72:73], v[123:124], s[34:35], v[184:185]
	v_add_f64 v[70:71], v[135:136], v[70:71]
	v_mul_f64 v[52:53], v[153:154], s[44:45]
	v_fma_f64 v[109:110], v[111:112], s[52:53], v[60:61]
	v_fma_f64 v[113:114], v[113:114], s[46:47], v[149:150]
	v_add_f64 v[22:23], v[105:106], v[22:23]
	v_fma_f64 v[68:69], v[123:124], s[28:29], v[68:69]
	v_add_f64 v[20:21], v[99:100], v[20:21]
	v_add_f64 v[30:31], v[30:31], v[46:47]
	v_mul_f64 v[135:136], v[153:154], s[24:25]
	v_mul_f64 v[99:100], v[141:142], s[36:37]
	v_add_f64 v[121:122], v[139:140], v[147:148]
	v_add_f64 v[32:33], v[32:33], v[44:45]
	v_fma_f64 v[105:106], v[111:112], s[42:43], v[151:152]
	v_mul_f64 v[62:63], v[141:142], s[50:51]
	v_fma_f64 v[125:126], v[127:128], s[6:7], -v[74:75]
	v_add_f64 v[34:35], v[34:35], v[58:59]
	v_add_f64 v[46:47], v[186:187], v[50:51]
	;; [unrolled: 1-line block ×3, first 2 shown]
	v_fma_f64 v[103:104], v[127:128], s[44:45], -v[88:89]
	v_add_f64 v[44:45], v[107:108], v[48:49]
	v_fma_f64 v[50:51], v[111:112], s[4:5], v[60:61]
	v_add_f64 v[40:41], v[54:55], v[40:41]
	v_fma_f64 v[60:61], v[127:128], s[6:7], v[74:75]
	v_add_f64 v[70:71], v[72:73], v[70:71]
	v_mul_f64 v[48:49], v[155:156], s[14:15]
	v_fma_f64 v[72:73], v[115:116], s[50:51], v[52:53]
	v_fma_f64 v[111:112], v[111:112], s[50:51], v[151:152]
	v_add_f64 v[22:23], v[113:114], v[22:23]
	v_fma_f64 v[88:89], v[127:128], s[44:45], v[88:89]
	v_add_f64 v[20:21], v[68:69], v[20:21]
	v_add_f64 v[30:31], v[30:31], v[38:39]
	v_mul_f64 v[68:69], v[143:144], s[4:5]
	v_add_f64 v[74:75], v[109:110], v[121:122]
	v_add_f64 v[32:33], v[32:33], v[36:37]
	v_mul_f64 v[109:110], v[155:156], s[6:7]
	v_fma_f64 v[113:114], v[115:116], s[36:37], v[135:136]
	v_mul_f64 v[54:55], v[143:144], s[8:9]
	v_fma_f64 v[107:108], v[129:130], s[44:45], -v[62:63]
	v_add_f64 v[38:39], v[125:126], v[46:47]
	v_add_f64 v[101:102], v[105:106], v[101:102]
	v_fma_f64 v[105:106], v[129:130], s[24:25], -v[99:100]
	v_add_f64 v[36:37], v[103:104], v[44:45]
	v_mul_f64 v[58:59], v[155:156], s[28:29]
	v_fma_f64 v[46:47], v[115:116], s[42:43], v[52:53]
	v_add_f64 v[40:41], v[50:51], v[40:41]
	v_fma_f64 v[52:53], v[129:130], s[44:45], v[62:63]
	v_add_f64 v[60:61], v[60:61], v[70:71]
	v_fma_f64 v[62:63], v[117:118], s[8:9], v[48:49]
	v_fma_f64 v[103:104], v[115:116], s[20:21], v[135:136]
	v_add_f64 v[22:23], v[111:112], v[22:23]
	v_fma_f64 v[99:100], v[129:130], s[24:25], v[99:100]
	v_add_f64 v[20:21], v[88:89], v[20:21]
	v_add_f64 v[26:27], v[30:31], v[26:27]
	v_mul_f64 v[88:89], v[145:146], s[30:31]
	v_add_f64 v[70:71], v[72:73], v[74:75]
	v_add_f64 v[24:25], v[32:33], v[24:25]
	v_mul_f64 v[74:75], v[157:158], s[34:35]
	v_fma_f64 v[111:112], v[117:118], s[4:5], v[109:110]
	v_mul_f64 v[44:45], v[157:158], s[26:27]
	v_mul_f64 v[50:51], v[145:146], s[22:23]
	v_fma_f64 v[72:73], v[131:132], s[14:15], -v[54:55]
	v_add_f64 v[101:102], v[113:114], v[101:102]
	v_fma_f64 v[113:114], v[131:132], s[6:7], -v[68:69]
	v_add_f64 v[30:31], v[105:106], v[36:37]
	v_add_f64 v[32:33], v[107:108], v[38:39]
	;; [unrolled: 1-line block ×3, first 2 shown]
	v_mul_f64 v[66:67], v[157:158], s[6:7]
	v_fma_f64 v[97:98], v[117:118], s[46:47], v[58:59]
	v_fma_f64 v[58:59], v[117:118], s[18:19], v[58:59]
	v_add_f64 v[36:37], v[194:195], v[188:189]
	v_fma_f64 v[48:49], v[117:118], s[48:49], v[48:49]
	v_add_f64 v[40:41], v[46:47], v[40:41]
	;; [unrolled: 2-line block ×3, first 2 shown]
	v_add_f64 v[22:23], v[103:104], v[22:23]
	v_fma_f64 v[68:69], v[131:132], s[6:7], v[68:69]
	v_add_f64 v[60:61], v[62:63], v[70:71]
	v_fma_f64 v[62:63], v[117:118], s[52:53], v[109:110]
	v_add_f64 v[20:21], v[99:100], v[20:21]
	v_add_f64 v[18:19], v[26:27], v[18:19]
	;; [unrolled: 1-line block ×3, first 2 shown]
	v_fma_f64 v[99:100], v[119:120], s[30:31], v[74:75]
	v_fma_f64 v[103:104], v[133:134], s[34:35], -v[88:89]
	v_add_f64 v[101:102], v[111:112], v[101:102]
	v_fma_f64 v[54:55], v[119:120], s[22:23], v[44:45]
	v_add_f64 v[30:31], v[113:114], v[30:31]
	v_fma_f64 v[70:71], v[133:134], s[26:27], -v[50:51]
	v_add_f64 v[72:73], v[72:73], v[32:33]
	v_fma_f64 v[38:39], v[119:120], s[4:5], v[66:67]
	v_add_f64 v[78:79], v[78:79], v[34:35]
	v_add_f64 v[42:43], v[58:59], v[42:43]
	v_fma_f64 v[58:59], v[133:134], s[6:7], -v[202:203]
	v_add_f64 v[105:106], v[169:170], v[36:37]
	v_fma_f64 v[159:160], v[133:134], s[14:15], -v[240:241]
	v_fma_f64 v[66:67], v[119:120], s[52:53], v[66:67]
	v_add_f64 v[97:98], v[97:98], v[179:180]
	v_fma_f64 v[107:108], v[133:134], s[6:7], v[202:203]
	v_add_f64 v[109:110], v[206:207], v[196:197]
	;; [unrolled: 2-line block ×6, first 2 shown]
	v_add_f64 v[36:37], v[18:19], v[14:15]
	v_add_f64 v[34:35], v[26:27], v[12:13]
	;; [unrolled: 1-line block ×22, first 2 shown]
	v_lshl_add_u32 v12, v96, 8, v181
	ds_write_b128 v12, v[34:37]
	ds_write_b128 v12, v[30:33] offset:16
	ds_write_b128 v12, v[22:25] offset:32
	;; [unrolled: 1-line block ×16, first 2 shown]
.LBB0_15:
	s_or_b32 exec_lo, exec_lo, s33
	v_and_b32_e32 v12, 0xff, v96
	v_mov_b32_e32 v13, 7
	s_load_dwordx2 s[2:3], s[2:3], 0x0
	s_waitcnt lgkmcnt(0)
	s_barrier
	v_mul_lo_u16 v12, 0xf1, v12
	buffer_gl0_inv
	s_mov_b32 s0, 0x667f3bcd
	s_mov_b32 s1, 0xbfe6a09e
	;; [unrolled: 1-line block ×3, first 2 shown]
	v_lshrrev_b16 v86, 12, v12
	s_mov_b32 s4, s0
	v_mul_lo_u16 v12, v86, 17
	v_sub_nc_u16 v87, v96, v12
	v_mul_u32_u24_sdwa v12, v87, v13 dst_sel:DWORD dst_unused:UNUSED_PAD src0_sel:BYTE_0 src1_sel:DWORD
	v_lshlrev_b32_e32 v36, 4, v12
	s_clause 0x6
	global_load_dwordx4 v[12:15], v36, s[12:13]
	global_load_dwordx4 v[16:19], v36, s[12:13] offset:16
	global_load_dwordx4 v[20:23], v36, s[12:13] offset:48
	global_load_dwordx4 v[24:27], v36, s[12:13] offset:80
	global_load_dwordx4 v[28:31], v36, s[12:13] offset:64
	global_load_dwordx4 v[32:35], v36, s[12:13] offset:32
	global_load_dwordx4 v[36:39], v36, s[12:13] offset:96
	ds_read_b128 v[40:43], v181 offset:2992
	ds_read_b128 v[44:47], v181 offset:5984
	;; [unrolled: 1-line block ×7, first 2 shown]
	ds_read_b128 v[68:71], v181
	s_waitcnt vmcnt(0) lgkmcnt(0)
	s_barrier
	buffer_gl0_inv
	v_mul_f64 v[72:73], v[42:43], v[14:15]
	v_mul_f64 v[14:15], v[40:41], v[14:15]
	;; [unrolled: 1-line block ×14, first 2 shown]
	v_fma_f64 v[40:41], v[40:41], v[12:13], -v[72:73]
	v_fma_f64 v[12:13], v[42:43], v[12:13], v[14:15]
	v_fma_f64 v[14:15], v[44:45], v[16:17], -v[74:75]
	v_fma_f64 v[16:17], v[46:47], v[16:17], v[18:19]
	;; [unrolled: 2-line block ×7, first 2 shown]
	v_add_f64 v[18:19], v[68:69], -v[18:19]
	v_add_f64 v[20:21], v[70:71], -v[20:21]
	;; [unrolled: 1-line block ×8, first 2 shown]
	v_fma_f64 v[38:39], v[68:69], 2.0, -v[18:19]
	v_fma_f64 v[42:43], v[70:71], 2.0, -v[20:21]
	v_fma_f64 v[14:15], v[14:15], 2.0, -v[22:23]
	v_fma_f64 v[16:17], v[16:17], 2.0, -v[24:25]
	v_fma_f64 v[40:41], v[40:41], 2.0, -v[26:27]
	v_fma_f64 v[12:13], v[12:13], 2.0, -v[28:29]
	v_add_f64 v[44:45], v[18:19], -v[24:25]
	v_add_f64 v[46:47], v[20:21], v[22:23]
	v_fma_f64 v[22:23], v[30:31], 2.0, -v[34:35]
	v_fma_f64 v[24:25], v[32:33], 2.0, -v[36:37]
	v_add_f64 v[30:31], v[26:27], -v[36:37]
	v_add_f64 v[32:33], v[28:29], v[34:35]
	v_add_f64 v[14:15], v[38:39], -v[14:15]
	v_add_f64 v[16:17], v[42:43], -v[16:17]
	v_fma_f64 v[18:19], v[18:19], 2.0, -v[44:45]
	v_fma_f64 v[48:49], v[20:21], 2.0, -v[46:47]
	v_add_f64 v[20:21], v[40:41], -v[22:23]
	v_add_f64 v[22:23], v[12:13], -v[24:25]
	v_fma_f64 v[34:35], v[26:27], 2.0, -v[30:31]
	v_fma_f64 v[28:29], v[28:29], 2.0, -v[32:33]
	v_fma_f64 v[24:25], v[30:31], s[4:5], v[44:45]
	v_fma_f64 v[26:27], v[32:33], s[4:5], v[46:47]
	v_fma_f64 v[50:51], v[38:39], 2.0, -v[14:15]
	v_fma_f64 v[52:53], v[42:43], 2.0, -v[16:17]
	;; [unrolled: 1-line block ×4, first 2 shown]
	v_fma_f64 v[56:57], v[34:35], s[0:1], v[18:19]
	v_fma_f64 v[58:59], v[28:29], s[0:1], v[48:49]
	v_add_f64 v[36:37], v[14:15], -v[22:23]
	v_add_f64 v[38:39], v[16:17], v[20:21]
	v_fma_f64 v[40:41], v[32:33], s[0:1], v[24:25]
	v_fma_f64 v[42:43], v[30:31], s[4:5], v[26:27]
	v_add_f64 v[24:25], v[50:51], -v[54:55]
	v_add_f64 v[26:27], v[52:53], -v[12:13]
	v_fma_f64 v[32:33], v[28:29], s[0:1], v[56:57]
	v_fma_f64 v[34:35], v[34:35], s[4:5], v[58:59]
	v_fma_f64 v[20:21], v[14:15], 2.0, -v[36:37]
	v_fma_f64 v[22:23], v[16:17], 2.0, -v[38:39]
	v_fma_f64 v[28:29], v[44:45], 2.0, -v[40:41]
	v_fma_f64 v[30:31], v[46:47], 2.0, -v[42:43]
	v_mov_b32_e32 v54, 0x880
	v_mov_b32_e32 v55, 4
	v_cmp_gt_u32_e64 s0, 0x88, v96
	v_mul_u32_u24_sdwa v44, v86, v54 dst_sel:DWORD dst_unused:UNUSED_PAD src0_sel:WORD_0 src1_sel:DWORD
	v_lshlrev_b32_sdwa v45, v55, v87 dst_sel:DWORD dst_unused:UNUSED_PAD src0_sel:DWORD src1_sel:BYTE_0
	v_add3_u32 v44, 0, v44, v45
	v_fma_f64 v[12:13], v[50:51], 2.0, -v[24:25]
	v_fma_f64 v[14:15], v[52:53], 2.0, -v[26:27]
	v_fma_f64 v[16:17], v[18:19], 2.0, -v[32:33]
	v_fma_f64 v[18:19], v[48:49], 2.0, -v[34:35]
	ds_write_b128 v44, v[36:39] offset:1632
	ds_write_b128 v44, v[40:43] offset:1904
	;; [unrolled: 1-line block ×6, first 2 shown]
	ds_write_b128 v44, v[12:15]
	ds_write_b128 v44, v[16:19] offset:272
	s_waitcnt lgkmcnt(0)
	s_barrier
	buffer_gl0_inv
	s_and_saveexec_b32 s1, s0
	s_cbranch_execz .LBB0_17
; %bb.16:
	ds_read_b128 v[12:15], v181
	ds_read_b128 v[16:19], v181 offset:2176
	ds_read_b128 v[20:23], v181 offset:4352
	;; [unrolled: 1-line block ×10, first 2 shown]
.LBB0_17:
	s_or_b32 exec_lo, exec_lo, s1
	s_waitcnt lgkmcnt(0)
	s_barrier
	buffer_gl0_inv
	s_and_saveexec_b32 s33, s0
	s_cbranch_execz .LBB0_19
; %bb.18:
	v_add_nc_u32_e32 v44, 0xffffff78, v96
	v_mov_b32_e32 v45, 0
	s_mov_b32 s8, 0x43842ef
	s_mov_b32 s4, 0xd9c712b6
	;; [unrolled: 1-line block ×3, first 2 shown]
	v_cndmask_b32_e64 v44, v44, v96, s0
	s_mov_b32 s14, 0x7f775887
	s_mov_b32 s18, 0xbb3a28a1
	;; [unrolled: 1-line block ×4, first 2 shown]
	v_mul_i32_i24_e32 v44, 10, v44
	s_mov_b32 s22, 0x9bcd5057
	s_mov_b32 s24, 0xfd768dbf
	;; [unrolled: 1-line block ×4, first 2 shown]
	v_lshlrev_b64 v[44:45], 4, v[44:45]
	s_mov_b32 s7, 0xbfed1bb4
	s_mov_b32 s15, 0xbfe4f49e
	;; [unrolled: 1-line block ×5, first 2 shown]
	v_add_co_u32 v76, s0, s12, v44
	v_add_co_ci_u32_e64 v77, s0, s13, v45, s0
	s_mov_b32 s23, 0xbfeeb42a
	v_add_co_u32 v80, s0, 0x7f0, v76
	v_add_co_ci_u32_e64 v81, s0, 0, v77, s0
	s_clause 0x9
	global_load_dwordx4 v[44:47], v[76:77], off offset:1968
	global_load_dwordx4 v[48:51], v[76:77], off offset:1984
	;; [unrolled: 1-line block ×10, first 2 shown]
	s_mov_b32 s0, 0x640f44db
	s_mov_b32 s1, 0xbfc2375f
	;; [unrolled: 1-line block ×13, first 2 shown]
	s_waitcnt vmcnt(9)
	v_mul_f64 v[84:85], v[32:33], v[46:47]
	s_waitcnt vmcnt(8)
	v_mul_f64 v[86:87], v[36:37], v[50:51]
	;; [unrolled: 2-line block ×3, first 2 shown]
	v_mul_f64 v[46:47], v[34:35], v[46:47]
	v_mul_f64 v[54:55], v[26:27], v[54:55]
	s_waitcnt vmcnt(2)
	v_mul_f64 v[103:104], v[16:17], v[74:75]
	v_mul_f64 v[74:75], v[18:19], v[74:75]
	;; [unrolled: 1-line block ×6, first 2 shown]
	s_waitcnt vmcnt(1)
	v_mul_f64 v[105:106], v[4:5], v[78:79]
	v_mul_f64 v[78:79], v[6:7], v[78:79]
	;; [unrolled: 1-line block ×4, first 2 shown]
	s_waitcnt vmcnt(0)
	v_mul_f64 v[107:108], v[8:9], v[82:83]
	v_mul_f64 v[50:51], v[38:39], v[50:51]
	;; [unrolled: 1-line block ×5, first 2 shown]
	v_fma_f64 v[84:85], v[34:35], v[44:45], v[84:85]
	v_fma_f64 v[38:39], v[38:39], v[48:49], v[86:87]
	;; [unrolled: 1-line block ×3, first 2 shown]
	v_fma_f64 v[32:33], v[32:33], v[44:45], -v[46:47]
	v_fma_f64 v[44:45], v[24:25], v[52:53], -v[54:55]
	v_fma_f64 v[18:19], v[18:19], v[72:73], v[103:104]
	v_fma_f64 v[16:17], v[16:17], v[72:73], -v[74:75]
	v_fma_f64 v[26:27], v[2:3], v[64:65], v[99:100]
	;; [unrolled: 2-line block ×5, first 2 shown]
	v_fma_f64 v[42:43], v[30:31], v[60:61], v[97:98]
	v_fma_f64 v[0:1], v[10:11], v[80:81], v[107:108]
	v_fma_f64 v[36:37], v[36:37], v[48:49], -v[50:51]
	v_fma_f64 v[28:29], v[28:29], v[60:61], -v[62:63]
	;; [unrolled: 1-line block ×4, first 2 shown]
	v_add_f64 v[8:9], v[84:85], v[38:39]
	v_add_f64 v[46:47], v[84:85], -v[38:39]
	v_add_f64 v[64:65], v[14:15], v[18:19]
	v_add_f64 v[66:67], v[12:13], v[16:17]
	;; [unrolled: 1-line block ×3, first 2 shown]
	v_add_f64 v[70:71], v[20:21], -v[4:5]
	v_add_f64 v[76:77], v[20:21], v[4:5]
	v_add_f64 v[78:79], v[22:23], -v[6:7]
	v_add_f64 v[10:11], v[86:87], v[34:35]
	v_add_f64 v[40:41], v[42:43], v[26:27]
	v_add_f64 v[48:49], v[86:87], -v[34:35]
	v_add_f64 v[50:51], v[42:43], -v[26:27]
	v_add_f64 v[72:73], v[18:19], v[0:1]
	v_add_f64 v[18:19], v[18:19], -v[0:1]
	v_add_f64 v[52:53], v[32:33], -v[36:37]
	;; [unrolled: 1-line block ×4, first 2 shown]
	v_add_f64 v[58:59], v[32:33], v[36:37]
	v_add_f64 v[60:61], v[44:45], v[30:31]
	;; [unrolled: 1-line block ×5, first 2 shown]
	v_add_f64 v[74:75], v[16:17], -v[2:3]
	v_add_f64 v[16:17], v[16:17], v[2:3]
	v_mul_f64 v[80:81], v[8:9], s[0:1]
	v_mul_f64 v[90:91], v[46:47], s[28:29]
	;; [unrolled: 1-line block ×18, first 2 shown]
	v_add_f64 v[22:23], v[22:23], v[42:43]
	v_add_f64 v[20:21], v[20:21], v[28:29]
	v_mul_f64 v[125:126], v[8:9], s[16:17]
	v_mul_f64 v[127:128], v[10:11], s[0:1]
	;; [unrolled: 1-line block ×24, first 2 shown]
	v_add_f64 v[22:23], v[22:23], v[86:87]
	v_add_f64 v[20:21], v[20:21], v[44:45]
	v_mul_f64 v[64:65], v[68:69], s[16:17]
	v_mul_f64 v[137:138], v[78:79], s[34:35]
	;; [unrolled: 1-line block ×8, first 2 shown]
	v_fma_f64 v[165:166], v[52:53], s[8:9], v[80:81]
	v_fma_f64 v[167:168], v[54:55], s[6:7], v[82:83]
	v_fma_f64 v[171:172], v[58:59], s[0:1], v[90:91]
	v_fma_f64 v[175:176], v[62:63], s[14:15], v[99:100]
	v_fma_f64 v[80:81], v[52:53], s[28:29], v[80:81]
	v_fma_f64 v[82:83], v[54:55], s[26:27], v[82:83]
	v_fma_f64 v[90:91], v[58:59], s[0:1], -v[90:91]
	v_fma_f64 v[99:100], v[62:63], s[14:15], -v[99:100]
	v_fma_f64 v[177:178], v[52:53], s[6:7], v[101:102]
	v_fma_f64 v[179:180], v[54:55], s[24:25], v[103:104]
	v_fma_f64 v[184:185], v[58:59], s[4:5], v[107:108]
	v_fma_f64 v[188:189], v[62:63], s[16:17], v[111:112]
	v_fma_f64 v[101:102], v[52:53], s[26:27], v[101:102]
	v_fma_f64 v[103:104], v[54:55], s[36:37], v[103:104]
	v_fma_f64 v[107:108], v[58:59], s[4:5], -v[107:108]
	v_fma_f64 v[111:112], v[62:63], s[16:17], -v[111:112]
	;; [unrolled: 8-line block ×4, first 2 shown]
	v_fma_f64 v[214:215], v[52:53], s[24:25], v[8:9]
	v_fma_f64 v[216:217], v[54:55], s[18:19], v[10:11]
	;; [unrolled: 1-line block ×9, first 2 shown]
	v_fma_f64 v[40:41], v[58:59], s[22:23], -v[46:47]
	v_fma_f64 v[46:47], v[60:61], s[14:15], -v[48:49]
	;; [unrolled: 1-line block ×3, first 2 shown]
	v_fma_f64 v[48:49], v[74:75], s[24:25], v[66:67]
	v_fma_f64 v[54:55], v[16:17], s[22:23], v[139:140]
	;; [unrolled: 1-line block ×3, first 2 shown]
	v_fma_f64 v[62:63], v[16:17], s[22:23], -v[139:140]
	v_fma_f64 v[66:67], v[74:75], s[18:19], v[143:144]
	v_fma_f64 v[139:140], v[16:17], s[14:15], v[147:148]
	v_fma_f64 v[143:144], v[74:75], s[30:31], v[143:144]
	v_fma_f64 v[226:227], v[70:71], s[36:37], v[149:150]
	v_fma_f64 v[86:87], v[70:71], s[24:25], v[149:150]
	v_fma_f64 v[149:150], v[74:75], s[28:29], v[151:152]
	v_fma_f64 v[238:239], v[74:75], s[20:21], v[72:73]
	v_fma_f64 v[240:241], v[16:17], s[16:17], -v[18:19]
	v_fma_f64 v[147:148], v[16:17], s[14:15], -v[147:148]
	v_fma_f64 v[232:233], v[74:75], s[26:27], v[159:160]
	v_fma_f64 v[236:237], v[16:17], s[4:5], v[163:164]
	;; [unrolled: 1-line block ×3, first 2 shown]
	v_fma_f64 v[163:164], v[16:17], s[4:5], -v[163:164]
	v_fma_f64 v[228:229], v[74:75], s[8:9], v[151:152]
	v_fma_f64 v[230:231], v[76:77], s[22:23], v[153:154]
	v_fma_f64 v[151:152], v[76:77], s[22:23], -v[153:154]
	v_fma_f64 v[153:154], v[16:17], s[0:1], -v[155:156]
	v_fma_f64 v[44:45], v[16:17], s[0:1], v[155:156]
	v_add_f64 v[22:23], v[22:23], v[84:85]
	v_add_f64 v[20:21], v[20:21], v[32:33]
	v_fma_f64 v[72:73], v[74:75], s[34:35], v[72:73]
	v_fma_f64 v[16:17], v[16:17], s[16:17], v[18:19]
	;; [unrolled: 1-line block ×5, first 2 shown]
	v_fma_f64 v[97:98], v[60:61], s[4:5], -v[97:98]
	v_fma_f64 v[182:183], v[56:57], s[34:35], v[105:106]
	v_fma_f64 v[186:187], v[60:61], s[22:23], v[109:110]
	v_fma_f64 v[105:106], v[56:57], s[20:21], v[105:106]
	v_fma_f64 v[109:110], v[60:61], s[22:23], -v[109:110]
	v_fma_f64 v[194:195], v[56:57], s[6:7], v[117:118]
	v_fma_f64 v[198:199], v[60:61], s[16:17], v[121:122]
	v_fma_f64 v[117:118], v[56:57], s[26:27], v[117:118]
	;; [unrolled: 4-line block ×5, first 2 shown]
	v_fma_f64 v[157:158], v[70:71], s[30:31], v[157:158]
	v_fma_f64 v[242:243], v[70:71], s[26:27], v[68:69]
	;; [unrolled: 1-line block ×4, first 2 shown]
	v_fma_f64 v[32:33], v[76:77], s[4:5], -v[78:79]
	v_add_f64 v[48:49], v[14:15], v[48:49]
	v_add_f64 v[54:55], v[12:13], v[54:55]
	;; [unrolled: 1-line block ×10, first 2 shown]
	v_fma_f64 v[137:138], v[76:77], s[0:1], v[145:146]
	v_fma_f64 v[145:146], v[76:77], s[0:1], -v[145:146]
	v_fma_f64 v[234:235], v[76:77], s[14:15], v[161:162]
	v_fma_f64 v[161:162], v[76:77], s[14:15], -v[161:162]
	v_add_f64 v[76:77], v[12:13], v[147:148]
	v_add_f64 v[84:85], v[14:15], v[159:160]
	;; [unrolled: 1-line block ×100, first 2 shown]
	ds_write_b128 v181, v[28:31] offset:2176
	ds_write_b128 v181, v[24:27] offset:4352
	;; [unrolled: 1-line block ×9, first 2 shown]
	ds_write_b128 v181, v[44:47]
	ds_write_b128 v181, v[40:43] offset:21760
.LBB0_19:
	s_or_b32 exec_lo, exec_lo, s33
	s_waitcnt lgkmcnt(0)
	s_barrier
	buffer_gl0_inv
	ds_read_b128 v[4:7], v181
	v_lshlrev_b32_e32 v0, 4, v96
	s_add_u32 s1, s12, 0x5c70
	s_addc_u32 s4, s13, 0
	s_mov_b32 s5, exec_lo
                                        ; implicit-def: $vgpr8_vgpr9
                                        ; implicit-def: $vgpr10_vgpr11
	v_sub_nc_u32_e32 v12, 0, v0
                                        ; implicit-def: $vgpr0_vgpr1
	v_cmpx_ne_u32_e32 0, v96
	s_xor_b32 s5, exec_lo, s5
	s_cbranch_execz .LBB0_21
; %bb.20:
	v_mov_b32_e32 v97, 0
	v_lshlrev_b64 v[0:1], 4, v[96:97]
	v_add_co_u32 v0, s0, s1, v0
	v_add_co_ci_u32_e64 v1, s0, s4, v1, s0
	global_load_dwordx4 v[13:16], v[0:1], off
	ds_read_b128 v[0:3], v12 offset:23936
	s_waitcnt lgkmcnt(0)
	v_add_f64 v[8:9], v[4:5], -v[0:1]
	v_add_f64 v[10:11], v[6:7], v[2:3]
	v_add_f64 v[2:3], v[6:7], -v[2:3]
	v_add_f64 v[0:1], v[4:5], v[0:1]
	v_mul_f64 v[6:7], v[8:9], 0.5
	v_mul_f64 v[4:5], v[10:11], 0.5
	v_mul_f64 v[2:3], v[2:3], 0.5
	s_waitcnt vmcnt(0)
	v_mul_f64 v[8:9], v[6:7], v[15:16]
	v_fma_f64 v[10:11], v[4:5], v[15:16], v[2:3]
	v_fma_f64 v[2:3], v[4:5], v[15:16], -v[2:3]
	v_fma_f64 v[17:18], v[0:1], 0.5, v[8:9]
	v_fma_f64 v[0:1], v[0:1], 0.5, -v[8:9]
	v_fma_f64 v[10:11], -v[13:14], v[6:7], v[10:11]
	v_fma_f64 v[2:3], -v[13:14], v[6:7], v[2:3]
	v_fma_f64 v[8:9], v[4:5], v[13:14], v[17:18]
	v_fma_f64 v[0:1], -v[4:5], v[13:14], v[0:1]
                                        ; implicit-def: $vgpr4_vgpr5
.LBB0_21:
	s_andn2_saveexec_b32 s0, s5
	s_cbranch_execz .LBB0_23
; %bb.22:
	v_mov_b32_e32 v15, 0
	s_waitcnt lgkmcnt(0)
	v_add_f64 v[8:9], v[4:5], v[6:7]
	v_add_f64 v[0:1], v[4:5], -v[6:7]
	v_mov_b32_e32 v10, 0
	v_mov_b32_e32 v11, 0
	ds_read_b64 v[13:14], v15 offset:11976
	v_mov_b32_e32 v2, v10
	v_mov_b32_e32 v3, v11
	s_waitcnt lgkmcnt(0)
	v_xor_b32_e32 v14, 0x80000000, v14
	ds_write_b64 v15, v[13:14] offset:11976
.LBB0_23:
	s_or_b32 exec_lo, exec_lo, s0
	s_waitcnt lgkmcnt(0)
	v_add_nc_u32_e32 v4, 0xbb, v96
	v_mov_b32_e32 v5, 0
	ds_write2_b64 v181, v[8:9], v[10:11] offset1:1
	ds_write_b128 v12, v[0:3] offset:23936
	v_lshlrev_b64 v[6:7], 4, v[4:5]
	v_add_nc_u32_e32 v4, 0x176, v96
	v_add_co_u32 v6, s0, s1, v6
	v_add_co_ci_u32_e64 v7, s0, s4, v7, s0
	global_load_dwordx4 v[13:16], v[6:7], off
	v_lshlrev_b64 v[6:7], 4, v[4:5]
	v_add_nc_u32_e32 v4, 0x231, v96
	v_lshlrev_b64 v[10:11], 4, v[4:5]
	v_add_co_u32 v6, s0, s1, v6
	v_add_co_ci_u32_e64 v7, s0, s4, v7, s0
	v_add_nc_u32_e32 v4, 0x800, v181
	v_add_co_u32 v10, s0, s1, v10
	global_load_dwordx4 v[17:20], v[6:7], off
	ds_read_b128 v[0:3], v181 offset:2992
	ds_read_b128 v[6:9], v12 offset:20944
	v_add_co_ci_u32_e64 v11, s0, s4, v11, s0
	global_load_dwordx4 v[21:24], v[10:11], off
	s_waitcnt lgkmcnt(0)
	v_add_f64 v[10:11], v[0:1], -v[6:7]
	v_add_f64 v[25:26], v[2:3], v[8:9]
	v_add_f64 v[2:3], v[2:3], -v[8:9]
	v_add_f64 v[0:1], v[0:1], v[6:7]
	v_mul_f64 v[8:9], v[10:11], 0.5
	v_mul_f64 v[10:11], v[25:26], 0.5
	;; [unrolled: 1-line block ×3, first 2 shown]
	s_waitcnt vmcnt(2)
	v_mul_f64 v[6:7], v[8:9], v[15:16]
	v_fma_f64 v[25:26], v[10:11], v[15:16], v[2:3]
	v_fma_f64 v[2:3], v[10:11], v[15:16], -v[2:3]
	v_fma_f64 v[15:16], v[0:1], 0.5, v[6:7]
	v_fma_f64 v[0:1], v[0:1], 0.5, -v[6:7]
	v_fma_f64 v[6:7], -v[13:14], v[8:9], v[25:26]
	v_fma_f64 v[2:3], -v[13:14], v[8:9], v[2:3]
	v_fma_f64 v[8:9], v[10:11], v[13:14], v[15:16]
	v_fma_f64 v[0:1], -v[10:11], v[13:14], v[0:1]
	ds_write2_b64 v4, v[8:9], v[6:7] offset0:118 offset1:119
	ds_write_b128 v12, v[0:3] offset:20944
	ds_read_b128 v[0:3], v181 offset:5984
	ds_read_b128 v[6:9], v12 offset:17952
	v_add_nc_u32_e32 v4, 0x1000, v181
	s_waitcnt lgkmcnt(0)
	v_add_f64 v[10:11], v[0:1], -v[6:7]
	v_add_f64 v[13:14], v[2:3], v[8:9]
	v_add_f64 v[2:3], v[2:3], -v[8:9]
	v_add_f64 v[0:1], v[0:1], v[6:7]
	v_mul_f64 v[8:9], v[10:11], 0.5
	v_mul_f64 v[10:11], v[13:14], 0.5
	;; [unrolled: 1-line block ×3, first 2 shown]
	s_waitcnt vmcnt(1)
	v_mul_f64 v[6:7], v[8:9], v[19:20]
	v_fma_f64 v[13:14], v[10:11], v[19:20], v[2:3]
	v_fma_f64 v[2:3], v[10:11], v[19:20], -v[2:3]
	v_fma_f64 v[15:16], v[0:1], 0.5, v[6:7]
	v_fma_f64 v[0:1], v[0:1], 0.5, -v[6:7]
	v_fma_f64 v[6:7], -v[17:18], v[8:9], v[13:14]
	v_fma_f64 v[2:3], -v[17:18], v[8:9], v[2:3]
	v_fma_f64 v[8:9], v[10:11], v[17:18], v[15:16]
	v_fma_f64 v[0:1], -v[10:11], v[17:18], v[0:1]
	ds_write2_b64 v4, v[8:9], v[6:7] offset0:236 offset1:237
	ds_write_b128 v12, v[0:3] offset:17952
	ds_read_b128 v[0:3], v181 offset:8976
	ds_read_b128 v[6:9], v12 offset:14960
	v_add_nc_u32_e32 v4, 0x2000, v181
	s_waitcnt lgkmcnt(0)
	v_add_f64 v[10:11], v[0:1], -v[6:7]
	v_add_f64 v[13:14], v[2:3], v[8:9]
	v_add_f64 v[2:3], v[2:3], -v[8:9]
	v_add_f64 v[0:1], v[0:1], v[6:7]
	v_mul_f64 v[8:9], v[10:11], 0.5
	v_mul_f64 v[10:11], v[13:14], 0.5
	v_mul_f64 v[2:3], v[2:3], 0.5
	s_waitcnt vmcnt(0)
	v_mul_f64 v[6:7], v[8:9], v[23:24]
	v_fma_f64 v[13:14], v[10:11], v[23:24], v[2:3]
	v_fma_f64 v[2:3], v[10:11], v[23:24], -v[2:3]
	v_fma_f64 v[15:16], v[0:1], 0.5, v[6:7]
	v_fma_f64 v[0:1], v[0:1], 0.5, -v[6:7]
	v_fma_f64 v[6:7], -v[21:22], v[8:9], v[13:14]
	v_fma_f64 v[2:3], -v[21:22], v[8:9], v[2:3]
	v_fma_f64 v[8:9], v[10:11], v[21:22], v[15:16]
	v_fma_f64 v[0:1], -v[10:11], v[21:22], v[0:1]
	ds_write2_b64 v4, v[8:9], v[6:7] offset0:98 offset1:99
	ds_write_b128 v12, v[0:3] offset:14960
	s_waitcnt lgkmcnt(0)
	s_barrier
	buffer_gl0_inv
	s_and_saveexec_b32 s0, vcc_lo
	s_cbranch_execz .LBB0_26
; %bb.24:
	v_mul_lo_u32 v2, s3, v94
	v_mul_lo_u32 v3, s2, v95
	v_mad_u64_u32 v[0:1], null, s2, v94, 0
	v_lshl_add_u32 v28, v96, 4, 0
	v_add_nc_u32_e32 v4, 0xbb, v96
	ds_read_b128 v[6:9], v28
	ds_read_b128 v[10:13], v28 offset:2992
	v_add3_u32 v1, v1, v3, v2
	v_mov_b32_e32 v97, v5
	v_lshlrev_b64 v[2:3], 4, v[92:93]
	v_lshlrev_b64 v[24:25], 4, v[4:5]
	v_add_nc_u32_e32 v4, 0x176, v96
	v_lshlrev_b64 v[0:1], 4, v[0:1]
	v_lshlrev_b64 v[22:23], 4, v[96:97]
	ds_read_b128 v[14:17], v28 offset:5984
	ds_read_b128 v[18:21], v28 offset:8976
	v_add_co_u32 v0, vcc_lo, s10, v0
	v_add_co_ci_u32_e32 v1, vcc_lo, s11, v1, vcc_lo
	v_add_co_u32 v0, vcc_lo, v0, v2
	v_add_co_ci_u32_e32 v1, vcc_lo, v1, v3, vcc_lo
	v_lshlrev_b64 v[2:3], 4, v[4:5]
	v_add_nc_u32_e32 v4, 0x231, v96
	v_add_co_u32 v22, vcc_lo, v0, v22
	v_add_co_ci_u32_e32 v23, vcc_lo, v1, v23, vcc_lo
	v_lshlrev_b64 v[26:27], 4, v[4:5]
	v_add_nc_u32_e32 v4, 0x2ec, v96
	v_add_co_u32 v24, vcc_lo, v0, v24
	v_add_co_ci_u32_e32 v25, vcc_lo, v1, v25, vcc_lo
	v_add_co_u32 v2, vcc_lo, v0, v2
	s_waitcnt lgkmcnt(3)
	global_store_dwordx4 v[22:23], v[6:9], off
	v_lshlrev_b64 v[6:7], 4, v[4:5]
	v_add_nc_u32_e32 v4, 0x3a7, v96
	v_add_co_ci_u32_e32 v3, vcc_lo, v1, v3, vcc_lo
	v_add_co_u32 v26, vcc_lo, v0, v26
	v_add_co_ci_u32_e32 v27, vcc_lo, v1, v27, vcc_lo
	v_lshlrev_b64 v[22:23], 4, v[4:5]
	v_add_nc_u32_e32 v4, 0x462, v96
	s_waitcnt lgkmcnt(2)
	global_store_dwordx4 v[24:25], v[10:13], off
	s_waitcnt lgkmcnt(1)
	global_store_dwordx4 v[2:3], v[14:17], off
	;; [unrolled: 2-line block ×3, first 2 shown]
	v_add_co_u32 v2, vcc_lo, v0, v6
	v_add_co_ci_u32_e32 v3, vcc_lo, v1, v7, vcc_lo
	ds_read_b128 v[6:9], v28 offset:11968
	ds_read_b128 v[10:13], v28 offset:14960
	ds_read_b128 v[14:17], v28 offset:17952
	ds_read_b128 v[18:21], v28 offset:20944
	v_lshlrev_b64 v[24:25], 4, v[4:5]
	v_add_nc_u32_e32 v4, 0x51d, v96
	v_add_co_u32 v22, vcc_lo, v0, v22
	v_add_co_ci_u32_e32 v23, vcc_lo, v1, v23, vcc_lo
	v_lshlrev_b64 v[4:5], 4, v[4:5]
	v_add_co_u32 v24, vcc_lo, v0, v24
	v_add_co_ci_u32_e32 v25, vcc_lo, v1, v25, vcc_lo
	v_add_co_u32 v4, vcc_lo, v0, v4
	v_add_co_ci_u32_e32 v5, vcc_lo, v1, v5, vcc_lo
	v_cmp_eq_u32_e32 vcc_lo, 0xba, v96
	s_waitcnt lgkmcnt(3)
	global_store_dwordx4 v[2:3], v[6:9], off
	s_waitcnt lgkmcnt(2)
	global_store_dwordx4 v[22:23], v[10:13], off
	;; [unrolled: 2-line block ×4, first 2 shown]
	s_and_b32 exec_lo, exec_lo, vcc_lo
	s_cbranch_execz .LBB0_26
; %bb.25:
	v_mov_b32_e32 v2, 0
	v_add_co_u32 v0, vcc_lo, 0x5800, v0
	v_add_co_ci_u32_e32 v1, vcc_lo, 0, v1, vcc_lo
	ds_read_b128 v[2:5], v2 offset:23936
	s_waitcnt lgkmcnt(0)
	global_store_dwordx4 v[0:1], v[2:5], off offset:1408
.LBB0_26:
	s_endpgm
	.section	.rodata,"a",@progbits
	.p2align	6, 0x0
	.amdhsa_kernel fft_rtc_fwd_len1496_factors_17_8_11_wgs_187_tpt_187_halfLds_dp_op_CI_CI_unitstride_sbrr_R2C_dirReg
		.amdhsa_group_segment_fixed_size 0
		.amdhsa_private_segment_fixed_size 0
		.amdhsa_kernarg_size 104
		.amdhsa_user_sgpr_count 6
		.amdhsa_user_sgpr_private_segment_buffer 1
		.amdhsa_user_sgpr_dispatch_ptr 0
		.amdhsa_user_sgpr_queue_ptr 0
		.amdhsa_user_sgpr_kernarg_segment_ptr 1
		.amdhsa_user_sgpr_dispatch_id 0
		.amdhsa_user_sgpr_flat_scratch_init 0
		.amdhsa_user_sgpr_private_segment_size 0
		.amdhsa_wavefront_size32 1
		.amdhsa_uses_dynamic_stack 0
		.amdhsa_system_sgpr_private_segment_wavefront_offset 0
		.amdhsa_system_sgpr_workgroup_id_x 1
		.amdhsa_system_sgpr_workgroup_id_y 0
		.amdhsa_system_sgpr_workgroup_id_z 0
		.amdhsa_system_sgpr_workgroup_info 0
		.amdhsa_system_vgpr_workitem_id 0
		.amdhsa_next_free_vgpr 254
		.amdhsa_next_free_sgpr 56
		.amdhsa_reserve_vcc 1
		.amdhsa_reserve_flat_scratch 0
		.amdhsa_float_round_mode_32 0
		.amdhsa_float_round_mode_16_64 0
		.amdhsa_float_denorm_mode_32 3
		.amdhsa_float_denorm_mode_16_64 3
		.amdhsa_dx10_clamp 1
		.amdhsa_ieee_mode 1
		.amdhsa_fp16_overflow 0
		.amdhsa_workgroup_processor_mode 1
		.amdhsa_memory_ordered 1
		.amdhsa_forward_progress 0
		.amdhsa_shared_vgpr_count 0
		.amdhsa_exception_fp_ieee_invalid_op 0
		.amdhsa_exception_fp_denorm_src 0
		.amdhsa_exception_fp_ieee_div_zero 0
		.amdhsa_exception_fp_ieee_overflow 0
		.amdhsa_exception_fp_ieee_underflow 0
		.amdhsa_exception_fp_ieee_inexact 0
		.amdhsa_exception_int_div_zero 0
	.end_amdhsa_kernel
	.text
.Lfunc_end0:
	.size	fft_rtc_fwd_len1496_factors_17_8_11_wgs_187_tpt_187_halfLds_dp_op_CI_CI_unitstride_sbrr_R2C_dirReg, .Lfunc_end0-fft_rtc_fwd_len1496_factors_17_8_11_wgs_187_tpt_187_halfLds_dp_op_CI_CI_unitstride_sbrr_R2C_dirReg
                                        ; -- End function
	.section	.AMDGPU.csdata,"",@progbits
; Kernel info:
; codeLenInByte = 13920
; NumSgprs: 58
; NumVgprs: 254
; ScratchSize: 0
; MemoryBound: 0
; FloatMode: 240
; IeeeMode: 1
; LDSByteSize: 0 bytes/workgroup (compile time only)
; SGPRBlocks: 7
; VGPRBlocks: 31
; NumSGPRsForWavesPerEU: 58
; NumVGPRsForWavesPerEU: 254
; Occupancy: 4
; WaveLimiterHint : 1
; COMPUTE_PGM_RSRC2:SCRATCH_EN: 0
; COMPUTE_PGM_RSRC2:USER_SGPR: 6
; COMPUTE_PGM_RSRC2:TRAP_HANDLER: 0
; COMPUTE_PGM_RSRC2:TGID_X_EN: 1
; COMPUTE_PGM_RSRC2:TGID_Y_EN: 0
; COMPUTE_PGM_RSRC2:TGID_Z_EN: 0
; COMPUTE_PGM_RSRC2:TIDIG_COMP_CNT: 0
	.text
	.p2alignl 6, 3214868480
	.fill 48, 4, 3214868480
	.type	__hip_cuid_331fb8f84037564,@object ; @__hip_cuid_331fb8f84037564
	.section	.bss,"aw",@nobits
	.globl	__hip_cuid_331fb8f84037564
__hip_cuid_331fb8f84037564:
	.byte	0                               ; 0x0
	.size	__hip_cuid_331fb8f84037564, 1

	.ident	"AMD clang version 19.0.0git (https://github.com/RadeonOpenCompute/llvm-project roc-6.4.0 25133 c7fe45cf4b819c5991fe208aaa96edf142730f1d)"
	.section	".note.GNU-stack","",@progbits
	.addrsig
	.addrsig_sym __hip_cuid_331fb8f84037564
	.amdgpu_metadata
---
amdhsa.kernels:
  - .args:
      - .actual_access:  read_only
        .address_space:  global
        .offset:         0
        .size:           8
        .value_kind:     global_buffer
      - .offset:         8
        .size:           8
        .value_kind:     by_value
      - .actual_access:  read_only
        .address_space:  global
        .offset:         16
        .size:           8
        .value_kind:     global_buffer
      - .actual_access:  read_only
        .address_space:  global
        .offset:         24
        .size:           8
        .value_kind:     global_buffer
      - .actual_access:  read_only
        .address_space:  global
        .offset:         32
        .size:           8
        .value_kind:     global_buffer
      - .offset:         40
        .size:           8
        .value_kind:     by_value
      - .actual_access:  read_only
        .address_space:  global
        .offset:         48
        .size:           8
        .value_kind:     global_buffer
      - .actual_access:  read_only
        .address_space:  global
        .offset:         56
        .size:           8
        .value_kind:     global_buffer
      - .offset:         64
        .size:           4
        .value_kind:     by_value
      - .actual_access:  read_only
        .address_space:  global
        .offset:         72
        .size:           8
        .value_kind:     global_buffer
      - .actual_access:  read_only
        .address_space:  global
        .offset:         80
        .size:           8
        .value_kind:     global_buffer
      - .actual_access:  read_only
        .address_space:  global
        .offset:         88
        .size:           8
        .value_kind:     global_buffer
      - .actual_access:  write_only
        .address_space:  global
        .offset:         96
        .size:           8
        .value_kind:     global_buffer
    .group_segment_fixed_size: 0
    .kernarg_segment_align: 8
    .kernarg_segment_size: 104
    .language:       OpenCL C
    .language_version:
      - 2
      - 0
    .max_flat_workgroup_size: 187
    .name:           fft_rtc_fwd_len1496_factors_17_8_11_wgs_187_tpt_187_halfLds_dp_op_CI_CI_unitstride_sbrr_R2C_dirReg
    .private_segment_fixed_size: 0
    .sgpr_count:     58
    .sgpr_spill_count: 0
    .symbol:         fft_rtc_fwd_len1496_factors_17_8_11_wgs_187_tpt_187_halfLds_dp_op_CI_CI_unitstride_sbrr_R2C_dirReg.kd
    .uniform_work_group_size: 1
    .uses_dynamic_stack: false
    .vgpr_count:     254
    .vgpr_spill_count: 0
    .wavefront_size: 32
    .workgroup_processor_mode: 1
amdhsa.target:   amdgcn-amd-amdhsa--gfx1030
amdhsa.version:
  - 1
  - 2
...

	.end_amdgpu_metadata
